;; amdgpu-corpus repo=ROCm/rocFFT kind=compiled arch=gfx1030 opt=O3
	.text
	.amdgcn_target "amdgcn-amd-amdhsa--gfx1030"
	.amdhsa_code_object_version 6
	.protected	bluestein_single_back_len1309_dim1_dp_op_CI_CI ; -- Begin function bluestein_single_back_len1309_dim1_dp_op_CI_CI
	.globl	bluestein_single_back_len1309_dim1_dp_op_CI_CI
	.p2align	8
	.type	bluestein_single_back_len1309_dim1_dp_op_CI_CI,@function
bluestein_single_back_len1309_dim1_dp_op_CI_CI: ; @bluestein_single_back_len1309_dim1_dp_op_CI_CI
; %bb.0:
	v_mul_u32_u24_e32 v1, 0x227, v0
	s_mov_b64 s[62:63], s[2:3]
	s_mov_b64 s[60:61], s[0:1]
	s_load_dwordx4 s[0:3], s[4:5], 0x28
	s_add_u32 s60, s60, s7
	v_lshrrev_b32_e32 v1, 16, v1
	s_addc_u32 s61, s61, 0
	v_mov_b32_e32 v4, 0
	v_add_nc_u32_e32 v3, s6, v1
	v_mov_b32_e32 v2, v3
	buffer_store_dword v2, off, s[60:63], 0 offset:4 ; 4-byte Folded Spill
	buffer_store_dword v3, off, s[60:63], 0 offset:8 ; 4-byte Folded Spill
	s_waitcnt lgkmcnt(0)
	v_cmp_gt_u64_e32 vcc_lo, s[0:1], v[3:4]
	s_and_saveexec_b32 s0, vcc_lo
	s_cbranch_execz .LBB0_23
; %bb.1:
	s_clause 0x1
	s_load_dwordx2 s[12:13], s[4:5], 0x0
	s_load_dwordx2 s[14:15], s[4:5], 0x38
	v_mul_lo_u16 v1, 0x77, v1
	v_sub_nc_u16 v0, v0, v1
	v_and_b32_e32 v1, 0xffff, v0
	v_cmp_gt_u16_e32 vcc_lo, 0x4d, v0
	v_lshlrev_b32_e32 v255, 4, v1
	buffer_store_dword v1, off, s[60:63], 0 ; 4-byte Folded Spill
	s_and_saveexec_b32 s1, vcc_lo
	s_cbranch_execz .LBB0_3
; %bb.2:
	s_load_dwordx2 s[6:7], s[4:5], 0x18
	s_waitcnt lgkmcnt(0)
	v_add_co_u32 v8, s0, s12, v255
	v_add_co_ci_u32_e64 v9, null, s13, 0, s0
	v_add_co_u32 v14, s0, 0x800, v8
	v_add_co_ci_u32_e64 v15, s0, 0, v9, s0
	v_add_co_u32 v18, s0, 0x1000, v8
	v_add_co_ci_u32_e64 v19, s0, 0, v9, s0
	;; [unrolled: 2-line block ×3, first 2 shown]
	v_add_co_u32 v34, s0, 0x2000, v8
	s_load_dwordx4 s[8:11], s[6:7], 0x0
	s_clause 0x1
	global_load_dwordx4 v[0:3], v255, s[12:13]
	global_load_dwordx4 v[4:7], v255, s[12:13] offset:1232
	s_clause 0x2
	buffer_load_dword v10, off, s[60:63], 0 offset:4
	buffer_load_dword v11, off, s[60:63], 0 offset:8
	buffer_load_dword v12, off, s[60:63], 0
	v_add_co_ci_u32_e64 v35, s0, 0, v9, s0
	v_add_co_u32 v38, s0, 0x2800, v8
	v_add_co_ci_u32_e64 v39, s0, 0, v9, s0
	v_add_co_u32 v46, s0, 0x3000, v8
	;; [unrolled: 2-line block ×4, first 2 shown]
	v_add_co_ci_u32_e64 v119, s0, 0, v9, s0
	s_waitcnt lgkmcnt(0)
	s_mul_i32 s6, s9, 0x4d0
	s_mul_hi_u32 s7, s8, 0x4d0
	s_add_i32 s7, s7, s6
	s_waitcnt vmcnt(1)
	v_mov_b32_e32 v11, v10
	s_waitcnt vmcnt(0)
	v_mad_u64_u32 v[22:23], null, s8, v12, 0
	v_mad_u64_u32 v[20:21], null, s10, v11, 0
	v_mov_b32_e32 v10, v21
	v_mad_u64_u32 v[10:11], null, s11, v11, v[10:11]
	v_mov_b32_e32 v11, v23
	;; [unrolled: 2-line block ×3, first 2 shown]
	s_clause 0x1
	global_load_dwordx4 v[10:13], v[14:15], off offset:416
	global_load_dwordx4 v[14:17], v[14:15], off offset:1648
	v_lshlrev_b64 v[24:25], 4, v[20:21]
	v_lshlrev_b64 v[22:23], 4, v[22:23]
	global_load_dwordx4 v[18:21], v[18:19], off offset:832
	v_add_co_u32 v24, s0, s2, v24
	v_add_co_ci_u32_e64 v25, s0, s3, v25, s0
	s_mul_i32 s2, s8, 0x4d0
	v_add_co_u32 v58, s0, v24, v22
	v_add_co_ci_u32_e64 v59, s0, v25, v23, s0
	s_clause 0x1
	global_load_dwordx4 v[22:25], v[26:27], off offset:16
	global_load_dwordx4 v[26:29], v[26:27], off offset:1248
	v_add_co_u32 v62, s0, v58, s2
	v_add_co_ci_u32_e64 v63, s0, s7, v59, s0
	s_clause 0x1
	global_load_dwordx4 v[30:33], v[34:35], off offset:432
	global_load_dwordx4 v[34:37], v[34:35], off offset:1664
	v_add_co_u32 v66, s0, v62, s2
	v_add_co_ci_u32_e64 v67, s0, s7, v63, s0
	global_load_dwordx4 v[38:41], v[38:39], off offset:848
	v_add_co_u32 v70, s0, v66, s2
	v_add_co_ci_u32_e64 v71, s0, s7, v67, s0
	s_clause 0x1
	global_load_dwordx4 v[42:45], v[46:47], off offset:32
	global_load_dwordx4 v[46:49], v[46:47], off offset:1264
	v_add_co_u32 v74, s0, v70, s2
	v_add_co_ci_u32_e64 v75, s0, s7, v71, s0
	s_clause 0x1
	global_load_dwordx4 v[50:53], v[54:55], off offset:448
	global_load_dwordx4 v[54:57], v[54:55], off offset:1680
	v_add_co_u32 v78, s0, v74, s2
	v_add_co_ci_u32_e64 v79, s0, s7, v75, s0
	s_clause 0x1
	global_load_dwordx4 v[58:61], v[58:59], off
	global_load_dwordx4 v[62:65], v[62:63], off
	v_add_co_u32 v82, s0, v78, s2
	v_add_co_ci_u32_e64 v83, s0, s7, v79, s0
	global_load_dwordx4 v[66:69], v[66:67], off
	v_add_co_u32 v86, s0, v82, s2
	v_add_co_ci_u32_e64 v87, s0, s7, v83, s0
	s_clause 0x1
	global_load_dwordx4 v[70:73], v[70:71], off
	global_load_dwordx4 v[74:77], v[74:75], off
	v_add_co_u32 v90, s0, v86, s2
	v_add_co_ci_u32_e64 v91, s0, s7, v87, s0
	global_load_dwordx4 v[78:81], v[78:79], off
	v_add_co_u32 v94, s0, v90, s2
	v_add_co_ci_u32_e64 v95, s0, s7, v91, s0
	;; [unrolled: 3-line block ×6, first 2 shown]
	v_add_co_u32 v120, s0, v110, s2
	v_add_co_ci_u32_e64 v121, s0, s7, v111, s0
	global_load_dwordx4 v[98:101], v[98:99], off
	global_load_dwordx4 v[102:105], v[102:103], off
	global_load_dwordx4 v[106:109], v[106:107], off
	global_load_dwordx4 v[110:113], v[110:111], off
	global_load_dwordx4 v[114:117], v[120:121], off
	v_add_co_u32 v122, s0, v120, s2
	v_add_co_ci_u32_e64 v123, s0, s7, v121, s0
	v_add_co_u32 v8, s0, 0x4800, v8
	v_add_co_ci_u32_e64 v9, s0, 0, v9, s0
	;; [unrolled: 2-line block ×3, first 2 shown]
	global_load_dwordx4 v[118:121], v[118:119], off offset:864
	global_load_dwordx4 v[122:125], v[122:123], off
	s_clause 0x1
	global_load_dwordx4 v[126:129], v[8:9], off offset:48
	global_load_dwordx4 v[130:133], v[8:9], off offset:1280
	global_load_dwordx4 v[134:137], v[134:135], off
	s_waitcnt vmcnt(19)
	v_mul_f64 v[8:9], v[60:61], v[2:3]
	v_mul_f64 v[2:3], v[58:59], v[2:3]
	s_waitcnt vmcnt(18)
	v_mul_f64 v[138:139], v[64:65], v[6:7]
	v_mul_f64 v[140:141], v[62:63], v[6:7]
	s_waitcnt vmcnt(17)
	v_mul_f64 v[142:143], v[68:69], v[12:13]
	v_mul_f64 v[12:13], v[66:67], v[12:13]
	s_waitcnt vmcnt(16)
	v_mul_f64 v[144:145], v[72:73], v[16:17]
	v_mul_f64 v[16:17], v[70:71], v[16:17]
	s_waitcnt vmcnt(15)
	v_mul_f64 v[146:147], v[76:77], v[20:21]
	v_mul_f64 v[20:21], v[74:75], v[20:21]
	s_waitcnt vmcnt(14)
	v_mul_f64 v[148:149], v[80:81], v[24:25]
	v_mul_f64 v[24:25], v[78:79], v[24:25]
	v_fma_f64 v[6:7], v[58:59], v[0:1], v[8:9]
	v_fma_f64 v[8:9], v[60:61], v[0:1], -v[2:3]
	v_fma_f64 v[0:1], v[62:63], v[4:5], v[138:139]
	v_fma_f64 v[2:3], v[64:65], v[4:5], -v[140:141]
	s_waitcnt vmcnt(13)
	v_mul_f64 v[4:5], v[84:85], v[28:29]
	v_mul_f64 v[28:29], v[82:83], v[28:29]
	s_waitcnt vmcnt(12)
	v_mul_f64 v[62:63], v[88:89], v[32:33]
	v_mul_f64 v[32:33], v[86:87], v[32:33]
	v_fma_f64 v[58:59], v[66:67], v[10:11], v[142:143]
	s_waitcnt vmcnt(11)
	v_mul_f64 v[64:65], v[92:93], v[36:37]
	v_mul_f64 v[36:37], v[90:91], v[36:37]
	v_fma_f64 v[60:61], v[68:69], v[10:11], -v[12:13]
	v_fma_f64 v[10:11], v[70:71], v[14:15], v[144:145]
	v_fma_f64 v[12:13], v[72:73], v[14:15], -v[16:17]
	s_waitcnt vmcnt(10)
	v_mul_f64 v[66:67], v[96:97], v[40:41]
	v_mul_f64 v[40:41], v[94:95], v[40:41]
	v_fma_f64 v[14:15], v[74:75], v[18:19], v[146:147]
	v_fma_f64 v[16:17], v[76:77], v[18:19], -v[20:21]
	v_fma_f64 v[18:19], v[78:79], v[22:23], v[148:149]
	v_fma_f64 v[20:21], v[80:81], v[22:23], -v[24:25]
	s_waitcnt vmcnt(9)
	v_mul_f64 v[68:69], v[100:101], v[44:45]
	v_mul_f64 v[44:45], v[98:99], v[44:45]
	s_waitcnt vmcnt(8)
	v_mul_f64 v[70:71], v[104:105], v[48:49]
	v_mul_f64 v[48:49], v[102:103], v[48:49]
	;; [unrolled: 3-line block ×4, first 2 shown]
	v_fma_f64 v[22:23], v[82:83], v[26:27], v[4:5]
	v_fma_f64 v[24:25], v[84:85], v[26:27], -v[28:29]
	v_fma_f64 v[26:27], v[86:87], v[30:31], v[62:63]
	v_fma_f64 v[28:29], v[88:89], v[30:31], -v[32:33]
	v_fma_f64 v[30:31], v[90:91], v[34:35], v[64:65]
	s_waitcnt vmcnt(4)
	v_mul_f64 v[76:77], v[116:117], v[120:121]
	v_mul_f64 v[78:79], v[114:115], v[120:121]
	s_waitcnt vmcnt(2)
	v_mul_f64 v[80:81], v[124:125], v[128:129]
	v_mul_f64 v[120:121], v[122:123], v[128:129]
	;; [unrolled: 3-line block ×3, first 2 shown]
	v_fma_f64 v[32:33], v[92:93], v[34:35], -v[36:37]
	v_fma_f64 v[34:35], v[94:95], v[38:39], v[66:67]
	v_fma_f64 v[36:37], v[96:97], v[38:39], -v[40:41]
	v_fma_f64 v[38:39], v[98:99], v[42:43], v[68:69]
	;; [unrolled: 2-line block ×8, first 2 shown]
	v_fma_f64 v[68:69], v[136:137], v[130:131], -v[132:133]
	ds_write_b128 v255, v[6:9]
	ds_write_b128 v255, v[0:3] offset:1232
	ds_write_b128 v255, v[58:61] offset:2464
	;; [unrolled: 1-line block ×16, first 2 shown]
.LBB0_3:
	s_or_b32 exec_lo, exec_lo, s1
	s_waitcnt lgkmcnt(0)
	s_waitcnt_vscnt null, 0x0
	s_barrier
	buffer_gl0_inv
                                        ; implicit-def: $vgpr20_vgpr21
                                        ; implicit-def: $vgpr44_vgpr45
                                        ; implicit-def: $vgpr52_vgpr53
                                        ; implicit-def: $vgpr56_vgpr57
                                        ; implicit-def: $vgpr60_vgpr61
                                        ; implicit-def: $vgpr68_vgpr69
                                        ; implicit-def: $vgpr72_vgpr73
                                        ; implicit-def: $vgpr76_vgpr77
                                        ; implicit-def: $vgpr84_vgpr85
                                        ; implicit-def: $vgpr88_vgpr89
                                        ; implicit-def: $vgpr92_vgpr93
                                        ; implicit-def: $vgpr80_vgpr81
                                        ; implicit-def: $vgpr32_vgpr33
                                        ; implicit-def: $vgpr28_vgpr29
                                        ; implicit-def: $vgpr24_vgpr25
                                        ; implicit-def: $vgpr16_vgpr17
                                        ; implicit-def: $vgpr12_vgpr13
	s_and_saveexec_b32 s0, vcc_lo
	s_cbranch_execz .LBB0_5
; %bb.4:
	ds_read_b128 v[20:23], v255
	ds_read_b128 v[44:47], v255 offset:1232
	ds_read_b128 v[52:55], v255 offset:2464
	;; [unrolled: 1-line block ×16, first 2 shown]
.LBB0_5:
	s_or_b32 exec_lo, exec_lo, s0
	s_waitcnt lgkmcnt(0)
	v_add_f64 v[104:105], v[46:47], -v[14:15]
	v_add_f64 v[106:107], v[44:45], -v[12:13]
	s_mov_b32 s2, 0x5d8e7cdc
	s_mov_b32 s3, 0xbfd71e95
	v_add_f64 v[110:111], v[54:55], -v[18:19]
	v_add_f64 v[108:109], v[52:53], -v[16:17]
	s_mov_b32 s6, 0x2a9d6da3
	s_mov_b32 s7, 0xbfe58eea
	;; [unrolled: 4-line block ×3, first 2 shown]
	v_add_f64 v[128:129], v[44:45], v[12:13]
	v_add_f64 v[132:133], v[46:47], v[14:15]
	s_mov_b32 s0, 0x370991
	s_mov_b32 s1, 0x3fedd6d0
	v_add_f64 v[96:97], v[52:53], v[16:17]
	v_add_f64 v[98:99], v[54:55], v[18:19]
	s_mov_b32 s8, 0x75d4884
	s_mov_b32 s9, 0x3fe7a5f6
	v_add_f64 v[120:121], v[58:59], v[26:27]
	s_mov_b32 s10, 0x2b2883cd
	v_mul_f64 v[0:1], v[104:105], s[2:3]
	v_mul_f64 v[2:3], v[106:107], s[2:3]
	s_mov_b32 s11, 0x3fdc86fa
	v_add_f64 v[222:223], v[62:63], -v[30:31]
	v_mul_f64 v[4:5], v[110:111], s[6:7]
	v_mul_f64 v[6:7], v[108:109], s[6:7]
	v_add_f64 v[224:225], v[60:61], -v[28:29]
	s_mov_b32 s28, 0xeb564b22
	v_mul_f64 v[8:9], v[218:219], s[38:39]
	v_mul_f64 v[10:11], v[220:221], s[38:39]
	s_mov_b32 s29, 0xbfefdd0d
	v_add_f64 v[144:145], v[62:63], v[30:31]
	s_mov_b32 s20, 0x3259b75e
	s_mov_b32 s21, 0x3fb79ee6
	v_add_f64 v[226:227], v[70:71], -v[34:35]
	s_mov_b32 s26, 0x923c349f
	s_mov_b32 s27, 0xbfeec746
	v_add_f64 v[114:115], v[56:57], v[24:25]
	v_add_f64 v[126:127], v[60:61], v[28:29]
	;; [unrolled: 1-line block ×3, first 2 shown]
	s_mov_b32 s22, 0xc61f0d01
	s_mov_b32 s23, 0xbfd183b1
	buffer_store_dword v0, off, s[60:63], 0 offset:96 ; 4-byte Folded Spill
	buffer_store_dword v1, off, s[60:63], 0 offset:100 ; 4-byte Folded Spill
	;; [unrolled: 1-line block ×12, first 2 shown]
	v_mul_f64 v[36:37], v[222:223], s[28:29]
	buffer_store_dword v36, off, s[60:63], 0 offset:80 ; 4-byte Folded Spill
	buffer_store_dword v37, off, s[60:63], 0 offset:84 ; 4-byte Folded Spill
	v_add_f64 v[228:229], v[68:69], -v[32:33]
	v_add_f64 v[170:171], v[70:71], v[34:35]
	v_add_f64 v[230:231], v[74:75], -v[82:83]
	s_mov_b32 s30, 0x6c9a05f6
	s_mov_b32 s31, 0xbfe9895b
	v_add_f64 v[154:155], v[72:73], v[80:81]
	s_mov_b32 s24, 0x6ed5f1bb
	s_mov_b32 s25, 0xbfe348c8
	v_add_f64 v[232:233], v[72:73], -v[80:81]
	v_add_f64 v[166:167], v[74:75], v[82:83]
	v_add_f64 v[234:235], v[78:79], -v[94:95]
	s_mov_b32 s34, 0x4363dd80
	s_mov_b32 s35, 0xbfe0d888
	v_add_f64 v[156:157], v[76:77], v[92:93]
	s_mov_b32 s18, 0x910ea3b9
	s_mov_b32 s19, 0xbfeb34fa
	;; [unrolled: 8-line block ×3, first 2 shown]
	v_add_f64 v[240:241], v[84:85], -v[88:89]
	v_add_f64 v[148:149], v[86:87], v[90:91]
	s_mov_b32 s49, 0x3fe0d888
	s_mov_b32 s48, s34
	;; [unrolled: 1-line block ×10, first 2 shown]
	v_mul_f64 v[168:169], v[104:105], s[28:29]
	v_mul_f64 v[176:177], v[106:107], s[28:29]
	s_mov_b32 s51, 0x3fe9895b
	s_mov_b32 s50, s30
	v_mul_f64 v[190:191], v[104:105], s[26:27]
	v_mul_f64 v[196:197], v[106:107], s[26:27]
	;; [unrolled: 1-line block ×27, first 2 shown]
	v_fma_f64 v[64:65], v[98:99], s[22:23], -v[188:189]
	v_fma_f64 v[246:247], v[98:99], s[10:11], v[244:245]
	v_fma_f64 v[0:1], v[128:129], s[0:1], v[0:1]
	v_fma_f64 v[2:3], v[132:133], s[0:1], -v[2:3]
	v_fma_f64 v[4:5], v[96:97], s[8:9], v[4:5]
	v_fma_f64 v[6:7], v[98:99], s[8:9], -v[6:7]
	v_fma_f64 v[8:9], v[114:115], s[10:11], v[8:9]
	v_add_f64 v[0:1], v[20:21], v[0:1]
	v_add_f64 v[2:3], v[22:23], v[2:3]
	;; [unrolled: 1-line block ×3, first 2 shown]
	v_fma_f64 v[4:5], v[120:121], s[10:11], -v[10:11]
	v_add_f64 v[2:3], v[6:7], v[2:3]
	v_fma_f64 v[6:7], v[126:127], s[20:21], v[36:37]
	v_add_f64 v[0:1], v[8:9], v[0:1]
	v_add_f64 v[2:3], v[4:5], v[2:3]
	v_mul_f64 v[4:5], v[224:225], s[28:29]
	buffer_store_dword v4, off, s[60:63], 0 offset:208 ; 4-byte Folded Spill
	buffer_store_dword v5, off, s[60:63], 0 offset:212 ; 4-byte Folded Spill
	v_add_f64 v[0:1], v[6:7], v[0:1]
	v_fma_f64 v[4:5], v[144:145], s[20:21], -v[4:5]
	v_add_f64 v[2:3], v[4:5], v[2:3]
	v_mul_f64 v[4:5], v[226:227], s[26:27]
	buffer_store_dword v4, off, s[60:63], 0 offset:144 ; 4-byte Folded Spill
	buffer_store_dword v5, off, s[60:63], 0 offset:148 ; 4-byte Folded Spill
	v_fma_f64 v[4:5], v[146:147], s[22:23], v[4:5]
	v_add_f64 v[0:1], v[4:5], v[0:1]
	v_mul_f64 v[4:5], v[228:229], s[26:27]
	buffer_store_dword v4, off, s[60:63], 0 offset:256 ; 4-byte Folded Spill
	buffer_store_dword v5, off, s[60:63], 0 offset:260 ; 4-byte Folded Spill
	v_fma_f64 v[4:5], v[170:171], s[22:23], -v[4:5]
	v_add_f64 v[2:3], v[4:5], v[2:3]
	v_mul_f64 v[4:5], v[230:231], s[30:31]
	buffer_store_dword v4, off, s[60:63], 0 offset:176 ; 4-byte Folded Spill
	buffer_store_dword v5, off, s[60:63], 0 offset:180 ; 4-byte Folded Spill
	v_fma_f64 v[4:5], v[154:155], s[24:25], v[4:5]
	v_add_f64 v[0:1], v[4:5], v[0:1]
	v_mul_f64 v[4:5], v[232:233], s[30:31]
	buffer_store_dword v4, off, s[60:63], 0 offset:240 ; 4-byte Folded Spill
	buffer_store_dword v5, off, s[60:63], 0 offset:244 ; 4-byte Folded Spill
	;; [unrolled: 10-line block ×4, first 2 shown]
	v_fma_f64 v[4:5], v[148:149], s[16:17], -v[4:5]
	v_add_f64 v[2:3], v[4:5], v[2:3]
	buffer_store_dword v0, off, s[60:63], 0 offset:12 ; 4-byte Folded Spill
	buffer_store_dword v1, off, s[60:63], 0 offset:16 ; 4-byte Folded Spill
	;; [unrolled: 1-line block ×4, first 2 shown]
	v_mul_f64 v[0:1], v[104:105], s[6:7]
	v_mul_f64 v[2:3], v[238:239], s[42:43]
	buffer_store_dword v0, off, s[60:63], 0 offset:544 ; 4-byte Folded Spill
	buffer_store_dword v1, off, s[60:63], 0 offset:548 ; 4-byte Folded Spill
	v_fma_f64 v[4:5], v[128:129], s[8:9], v[0:1]
	v_mul_f64 v[0:1], v[110:111], s[28:29]
	buffer_store_dword v0, off, s[60:63], 0 offset:296 ; 4-byte Folded Spill
	buffer_store_dword v1, off, s[60:63], 0 offset:300 ; 4-byte Folded Spill
	v_add_f64 v[4:5], v[20:21], v[4:5]
	v_fma_f64 v[6:7], v[96:97], s[20:21], v[0:1]
	v_mul_f64 v[0:1], v[106:107], s[6:7]
	buffer_store_dword v0, off, s[60:63], 0 offset:560 ; 4-byte Folded Spill
	buffer_store_dword v1, off, s[60:63], 0 offset:564 ; 4-byte Folded Spill
	v_add_f64 v[4:5], v[6:7], v[4:5]
	v_fma_f64 v[6:7], v[132:133], s[8:9], -v[0:1]
	v_mul_f64 v[0:1], v[108:109], s[28:29]
	buffer_store_dword v0, off, s[60:63], 0 offset:344 ; 4-byte Folded Spill
	buffer_store_dword v1, off, s[60:63], 0 offset:348 ; 4-byte Folded Spill
	v_add_f64 v[6:7], v[22:23], v[6:7]
	v_fma_f64 v[8:9], v[98:99], s[20:21], -v[0:1]
	v_mul_f64 v[0:1], v[218:219], s[30:31]
	buffer_store_dword v0, off, s[60:63], 0 offset:336 ; 4-byte Folded Spill
	buffer_store_dword v1, off, s[60:63], 0 offset:340 ; 4-byte Folded Spill
	v_add_f64 v[6:7], v[8:9], v[6:7]
	v_fma_f64 v[8:9], v[114:115], s[24:25], v[0:1]
	v_mul_f64 v[0:1], v[220:221], s[30:31]
	buffer_store_dword v0, off, s[60:63], 0 offset:360 ; 4-byte Folded Spill
	buffer_store_dword v1, off, s[60:63], 0 offset:364 ; 4-byte Folded Spill
	v_add_f64 v[4:5], v[8:9], v[4:5]
	v_fma_f64 v[8:9], v[120:121], s[24:25], -v[0:1]
	v_mul_f64 v[0:1], v[222:223], s[36:37]
	buffer_store_dword v0, off, s[60:63], 0 offset:352 ; 4-byte Folded Spill
	buffer_store_dword v1, off, s[60:63], 0 offset:356 ; 4-byte Folded Spill
	v_add_f64 v[6:7], v[8:9], v[6:7]
	v_fma_f64 v[8:9], v[126:127], s[16:17], v[0:1]
	;; [unrolled: 10-line block ×6, first 2 shown]
	v_add_f64 v[4:5], v[8:9], v[4:5]
	v_fma_f64 v[8:9], v[148:149], s[0:1], -v[0:1]
	v_mul_f64 v[0:1], v[104:105], s[38:39]
	buffer_store_dword v0, off, s[60:63], 0 offset:624 ; 4-byte Folded Spill
	buffer_store_dword v1, off, s[60:63], 0 offset:628 ; 4-byte Folded Spill
	v_add_f64 v[6:7], v[8:9], v[6:7]
	v_fma_f64 v[8:9], v[128:129], s[10:11], v[0:1]
	v_mul_f64 v[0:1], v[110:111], s[30:31]
	buffer_store_dword v0, off, s[60:63], 0 offset:432 ; 4-byte Folded Spill
	buffer_store_dword v1, off, s[60:63], 0 offset:436 ; 4-byte Folded Spill
	v_add_f64 v[8:9], v[20:21], v[8:9]
	v_fma_f64 v[10:11], v[96:97], s[24:25], v[0:1]
	v_mul_f64 v[0:1], v[106:107], s[38:39]
	buffer_store_dword v0, off, s[60:63], 0 offset:632 ; 4-byte Folded Spill
	buffer_store_dword v1, off, s[60:63], 0 offset:636 ; 4-byte Folded Spill
	v_add_f64 v[8:9], v[10:11], v[8:9]
	v_fma_f64 v[10:11], v[132:133], s[10:11], -v[0:1]
	v_mul_f64 v[0:1], v[108:109], s[30:31]
	buffer_store_dword v0, off, s[60:63], 0 offset:448 ; 4-byte Folded Spill
	buffer_store_dword v1, off, s[60:63], 0 offset:452 ; 4-byte Folded Spill
	v_add_f64 v[10:11], v[22:23], v[10:11]
	v_fma_f64 v[36:37], v[98:99], s[24:25], -v[0:1]
	v_mul_f64 v[0:1], v[218:219], s[44:45]
	buffer_store_dword v0, off, s[60:63], 0 offset:440 ; 4-byte Folded Spill
	buffer_store_dword v1, off, s[60:63], 0 offset:444 ; 4-byte Folded Spill
	v_add_f64 v[10:11], v[36:37], v[10:11]
	v_fma_f64 v[36:37], v[114:115], s[16:17], v[0:1]
	v_mul_f64 v[0:1], v[220:221], s[44:45]
	buffer_store_dword v0, off, s[60:63], 0 offset:472 ; 4-byte Folded Spill
	buffer_store_dword v1, off, s[60:63], 0 offset:476 ; 4-byte Folded Spill
	v_add_f64 v[8:9], v[36:37], v[8:9]
	s_mov_b32 s45, 0x3fe58eea
	s_mov_b32 s44, s6
	v_mul_f64 v[150:151], v[220:221], s[44:45]
	v_fma_f64 v[36:37], v[120:121], s[16:17], -v[0:1]
	v_mul_f64 v[0:1], v[222:223], s[46:47]
	buffer_store_dword v0, off, s[60:63], 0 offset:464 ; 4-byte Folded Spill
	buffer_store_dword v1, off, s[60:63], 0 offset:468 ; 4-byte Folded Spill
	v_add_f64 v[10:11], v[36:37], v[10:11]
	v_fma_f64 v[36:37], v[126:127], s[22:23], v[0:1]
	v_mul_f64 v[0:1], v[224:225], s[46:47]
	buffer_store_dword v0, off, s[60:63], 0 offset:488 ; 4-byte Folded Spill
	buffer_store_dword v1, off, s[60:63], 0 offset:492 ; 4-byte Folded Spill
	v_add_f64 v[8:9], v[36:37], v[8:9]
	v_fma_f64 v[36:37], v[144:145], s[22:23], -v[0:1]
	v_mul_f64 v[0:1], v[226:227], s[44:45]
	buffer_store_dword v0, off, s[60:63], 0 offset:480 ; 4-byte Folded Spill
	buffer_store_dword v1, off, s[60:63], 0 offset:484 ; 4-byte Folded Spill
	v_add_f64 v[10:11], v[36:37], v[10:11]
	v_fma_f64 v[36:37], v[146:147], s[8:9], v[0:1]
	v_mul_f64 v[0:1], v[228:229], s[44:45]
	buffer_store_dword v0, off, s[60:63], 0 offset:520 ; 4-byte Folded Spill
	buffer_store_dword v1, off, s[60:63], 0 offset:524 ; 4-byte Folded Spill
	v_add_f64 v[8:9], v[36:37], v[8:9]
	;; [unrolled: 10-line block ×5, first 2 shown]
	v_fma_f64 v[36:37], v[148:149], s[18:19], -v[0:1]
	v_mul_f64 v[0:1], v[110:111], s[36:37]
	buffer_store_dword v0, off, s[60:63], 0 offset:552 ; 4-byte Folded Spill
	buffer_store_dword v1, off, s[60:63], 0 offset:556 ; 4-byte Folded Spill
	v_add_f64 v[10:11], v[36:37], v[10:11]
	v_fma_f64 v[36:37], v[128:129], s[20:21], v[168:169]
	v_add_f64 v[36:37], v[20:21], v[36:37]
	v_fma_f64 v[38:39], v[96:97], s[16:17], v[0:1]
	v_mul_f64 v[0:1], v[108:109], s[36:37]
	buffer_store_dword v0, off, s[60:63], 0 offset:576 ; 4-byte Folded Spill
	buffer_store_dword v1, off, s[60:63], 0 offset:580 ; 4-byte Folded Spill
	v_add_f64 v[36:37], v[38:39], v[36:37]
	v_fma_f64 v[38:39], v[132:133], s[20:21], -v[176:177]
	v_add_f64 v[38:39], v[22:23], v[38:39]
	v_fma_f64 v[40:41], v[98:99], s[16:17], -v[0:1]
	v_mul_f64 v[0:1], v[218:219], s[46:47]
	buffer_store_dword v0, off, s[60:63], 0 offset:568 ; 4-byte Folded Spill
	buffer_store_dword v1, off, s[60:63], 0 offset:572 ; 4-byte Folded Spill
	v_add_f64 v[38:39], v[40:41], v[38:39]
	v_fma_f64 v[40:41], v[114:115], s[22:23], v[0:1]
	v_mul_f64 v[0:1], v[220:221], s[46:47]
	buffer_store_dword v0, off, s[60:63], 0 offset:592 ; 4-byte Folded Spill
	buffer_store_dword v1, off, s[60:63], 0 offset:596 ; 4-byte Folded Spill
	v_add_f64 v[36:37], v[40:41], v[36:37]
	v_fma_f64 v[40:41], v[120:121], s[22:23], -v[0:1]
	v_mul_f64 v[0:1], v[222:223], s[42:43]
	buffer_store_dword v0, off, s[60:63], 0 offset:584 ; 4-byte Folded Spill
	buffer_store_dword v1, off, s[60:63], 0 offset:588 ; 4-byte Folded Spill
	v_add_f64 v[38:39], v[40:41], v[38:39]
	v_fma_f64 v[40:41], v[126:127], s[0:1], v[0:1]
	v_mul_f64 v[0:1], v[224:225], s[42:43]
	buffer_store_dword v0, off, s[60:63], 0 offset:608 ; 4-byte Folded Spill
	buffer_store_dword v1, off, s[60:63], 0 offset:612 ; 4-byte Folded Spill
	;; [unrolled: 10-line block ×6, first 2 shown]
	v_add_f64 v[40:41], v[40:41], v[36:37]
	v_fma_f64 v[36:37], v[148:149], s[8:9], -v[0:1]
	v_mul_f64 v[0:1], v[110:111], s[48:49]
	buffer_store_dword v0, off, s[60:63], 0 offset:640 ; 4-byte Folded Spill
	buffer_store_dword v1, off, s[60:63], 0 offset:644 ; 4-byte Folded Spill
	v_add_f64 v[42:43], v[36:37], v[38:39]
	v_fma_f64 v[36:37], v[128:129], s[22:23], v[190:191]
	v_mul_f64 v[110:111], v[110:111], s[42:43]
	v_add_f64 v[36:37], v[20:21], v[36:37]
	v_fma_f64 v[38:39], v[96:97], s[18:19], v[0:1]
	v_mul_f64 v[0:1], v[108:109], s[48:49]
	buffer_store_dword v0, off, s[60:63], 0 offset:664 ; 4-byte Folded Spill
	buffer_store_dword v1, off, s[60:63], 0 offset:668 ; 4-byte Folded Spill
	v_add_f64 v[36:37], v[38:39], v[36:37]
	v_fma_f64 v[38:39], v[132:133], s[22:23], -v[196:197]
	v_mul_f64 v[108:109], v[108:109], s[42:43]
	v_add_f64 v[38:39], v[22:23], v[38:39]
	v_fma_f64 v[48:49], v[98:99], s[18:19], -v[0:1]
	v_mul_f64 v[0:1], v[218:219], s[44:45]
	buffer_store_dword v0, off, s[60:63], 0 offset:648 ; 4-byte Folded Spill
	buffer_store_dword v1, off, s[60:63], 0 offset:652 ; 4-byte Folded Spill
	v_add_f64 v[38:39], v[48:49], v[38:39]
	v_fma_f64 v[48:49], v[114:115], s[8:9], v[0:1]
	v_mul_f64 v[0:1], v[222:223], s[38:39]
	buffer_store_dword v0, off, s[60:63], 0 offset:656 ; 4-byte Folded Spill
	buffer_store_dword v1, off, s[60:63], 0 offset:660 ; 4-byte Folded Spill
	v_add_f64 v[36:37], v[48:49], v[36:37]
	v_fma_f64 v[48:49], v[120:121], s[8:9], -v[150:151]
	s_mov_b32 s39, 0x3fefdd0d
	s_mov_b32 s38, s28
	v_mul_f64 v[158:159], v[230:231], s[38:39]
	v_mul_f64 v[174:175], v[232:233], s[38:39]
	;; [unrolled: 1-line block ×4, first 2 shown]
	v_add_f64 v[38:39], v[48:49], v[38:39]
	v_fma_f64 v[48:49], v[126:127], s[10:11], v[0:1]
	v_add_f64 v[36:37], v[48:49], v[36:37]
	v_fma_f64 v[48:49], v[144:145], s[10:11], -v[152:153]
	v_add_f64 v[38:39], v[48:49], v[38:39]
	v_fma_f64 v[48:49], v[146:147], s[16:17], v[142:143]
	v_add_f64 v[36:37], v[48:49], v[36:37]
	v_fma_f64 v[48:49], v[170:171], s[16:17], -v[160:161]
	;; [unrolled: 4-line block ×5, first 2 shown]
	v_add_f64 v[50:51], v[36:37], v[38:39]
	v_fma_f64 v[36:37], v[128:129], s[24:25], v[214:215]
	v_fma_f64 v[38:39], v[96:97], s[22:23], v[182:183]
	v_add_f64 v[36:37], v[20:21], v[36:37]
	v_add_f64 v[36:37], v[38:39], v[36:37]
	v_fma_f64 v[38:39], v[132:133], s[24:25], -v[216:217]
	v_add_f64 v[38:39], v[22:23], v[38:39]
	v_add_f64 v[38:39], v[64:65], v[38:39]
	v_fma_f64 v[64:65], v[114:115], s[0:1], v[184:185]
	v_add_f64 v[36:37], v[64:65], v[36:37]
	v_fma_f64 v[64:65], v[120:121], s[0:1], -v[194:195]
	v_add_f64 v[38:39], v[64:65], v[38:39]
	v_fma_f64 v[64:65], v[126:127], s[18:19], v[186:187]
	v_add_f64 v[36:37], v[64:65], v[36:37]
	v_fma_f64 v[64:65], v[144:145], s[18:19], -v[200:201]
	;; [unrolled: 4-line block ×6, first 2 shown]
	v_add_f64 v[66:67], v[36:37], v[38:39]
	v_fma_f64 v[36:37], v[128:129], s[18:19], -v[100:101]
	v_fma_f64 v[38:39], v[96:97], s[10:11], -v[102:103]
	v_fma_f64 v[100:101], v[128:129], s[18:19], v[100:101]
	v_fma_f64 v[102:103], v[96:97], s[10:11], v[102:103]
	v_add_f64 v[36:37], v[20:21], v[36:37]
	v_add_f64 v[100:101], v[20:21], v[100:101]
	;; [unrolled: 1-line block ×3, first 2 shown]
	v_fma_f64 v[38:39], v[132:133], s[18:19], v[242:243]
	v_add_f64 v[100:101], v[102:103], v[100:101]
	v_fma_f64 v[102:103], v[132:133], s[18:19], -v[242:243]
	v_add_f64 v[38:39], v[22:23], v[38:39]
	v_add_f64 v[102:103], v[22:23], v[102:103]
	;; [unrolled: 1-line block ×3, first 2 shown]
	v_mul_f64 v[246:247], v[218:219], s[28:29]
	v_fma_f64 v[248:249], v[114:115], s[20:21], -v[246:247]
	v_add_f64 v[36:37], v[248:249], v[36:37]
	v_mul_f64 v[248:249], v[220:221], s[28:29]
	v_fma_f64 v[250:251], v[120:121], s[20:21], v[248:249]
	v_add_f64 v[38:39], v[250:251], v[38:39]
	v_mul_f64 v[250:251], v[222:223], s[50:51]
	v_fma_f64 v[252:253], v[126:127], s[24:25], -v[250:251]
	v_add_f64 v[36:37], v[252:253], v[36:37]
	v_mul_f64 v[252:253], v[224:225], s[50:51]
	v_fma_f64 v[112:113], v[144:145], s[24:25], v[252:253]
	v_add_f64 v[38:39], v[112:113], v[38:39]
	v_mul_f64 v[112:113], v[226:227], s[2:3]
	v_fma_f64 v[116:117], v[146:147], s[0:1], -v[112:113]
	v_fma_f64 v[112:113], v[146:147], s[0:1], v[112:113]
	v_add_f64 v[36:37], v[116:117], v[36:37]
	v_mul_f64 v[116:117], v[228:229], s[2:3]
	s_clause 0x1
	s_load_dwordx2 s[6:7], s[4:5], 0x20
	s_load_dwordx2 s[2:3], s[4:5], 0x8
	s_waitcnt lgkmcnt(0)
	s_waitcnt_vscnt null, 0x0
	s_barrier
	buffer_gl0_inv
	buffer_load_dword v0, off, s[60:63], 0  ; 4-byte Folded Reload
	v_fma_f64 v[118:119], v[170:171], s[0:1], v[116:117]
	v_add_f64 v[38:39], v[118:119], v[38:39]
	v_mul_f64 v[118:119], v[230:231], s[36:37]
	v_fma_f64 v[122:123], v[154:155], s[16:17], -v[118:119]
	v_add_f64 v[36:37], v[122:123], v[36:37]
	v_mul_f64 v[122:123], v[232:233], s[36:37]
	v_fma_f64 v[124:125], v[166:167], s[16:17], v[122:123]
	v_add_f64 v[38:39], v[124:125], v[38:39]
	v_mul_f64 v[124:125], v[234:235], s[44:45]
	v_fma_f64 v[130:131], v[156:157], s[8:9], -v[124:125]
	v_add_f64 v[36:37], v[130:131], v[36:37]
	v_mul_f64 v[130:131], v[236:237], s[44:45]
	;; [unrolled: 6-line block ×3, first 2 shown]
	v_fma_f64 v[140:141], v[148:149], s[22:23], v[136:137]
	v_add_f64 v[38:39], v[140:141], v[38:39]
	v_fma_f64 v[140:141], v[98:99], s[10:11], -v[244:245]
	s_waitcnt vmcnt(0)
	v_mul_lo_u16 v0, v0, 17
	buffer_store_dword v0, off, s[60:63], 0 offset:28 ; 4-byte Folded Spill
	v_add_f64 v[102:103], v[140:141], v[102:103]
	v_fma_f64 v[140:141], v[114:115], s[20:21], v[246:247]
	v_add_f64 v[100:101], v[140:141], v[100:101]
	v_fma_f64 v[140:141], v[120:121], s[20:21], -v[248:249]
	v_add_f64 v[102:103], v[140:141], v[102:103]
	v_fma_f64 v[140:141], v[126:127], s[24:25], v[250:251]
	v_add_f64 v[100:101], v[140:141], v[100:101]
	v_fma_f64 v[140:141], v[144:145], s[24:25], -v[252:253]
	v_add_f64 v[100:101], v[112:113], v[100:101]
	v_add_f64 v[102:103], v[140:141], v[102:103]
	v_fma_f64 v[112:113], v[170:171], s[0:1], -v[116:117]
	v_fma_f64 v[116:117], v[148:149], s[22:23], -v[136:137]
	v_add_f64 v[102:103], v[112:113], v[102:103]
	v_fma_f64 v[112:113], v[154:155], s[16:17], v[118:119]
	v_fma_f64 v[118:119], v[98:99], s[0:1], v[108:109]
	v_fma_f64 v[108:109], v[98:99], s[0:1], -v[108:109]
	v_add_f64 v[100:101], v[112:113], v[100:101]
	v_fma_f64 v[112:113], v[166:167], s[16:17], -v[122:123]
	v_add_f64 v[102:103], v[112:113], v[102:103]
	v_fma_f64 v[112:113], v[156:157], s[8:9], v[124:125]
	v_add_f64 v[100:101], v[112:113], v[100:101]
	v_fma_f64 v[112:113], v[162:163], s[8:9], -v[130:131]
	v_add_f64 v[102:103], v[112:113], v[102:103]
	v_fma_f64 v[112:113], v[138:139], s[22:23], v[134:135]
	v_add_f64 v[102:103], v[116:117], v[102:103]
	v_add_f64 v[100:101], v[112:113], v[100:101]
	v_mul_f64 v[112:113], v[104:105], s[36:37]
	v_fma_f64 v[116:117], v[96:97], s[0:1], -v[110:111]
	v_fma_f64 v[110:111], v[96:97], s[0:1], v[110:111]
	v_fma_f64 v[104:105], v[128:129], s[16:17], -v[112:113]
	v_fma_f64 v[112:113], v[128:129], s[16:17], v[112:113]
	v_add_f64 v[104:105], v[20:21], v[104:105]
	v_add_f64 v[112:113], v[20:21], v[112:113]
	;; [unrolled: 1-line block ×3, first 2 shown]
	v_mul_f64 v[116:117], v[106:107], s[36:37]
	v_add_f64 v[110:111], v[110:111], v[112:113]
	v_fma_f64 v[106:107], v[132:133], s[16:17], v[116:117]
	v_fma_f64 v[112:113], v[132:133], s[16:17], -v[116:117]
	v_add_f64 v[106:107], v[22:23], v[106:107]
	v_add_f64 v[112:113], v[22:23], v[112:113]
	;; [unrolled: 1-line block ×3, first 2 shown]
	v_mul_f64 v[118:119], v[218:219], s[34:35]
	v_add_f64 v[108:109], v[108:109], v[112:113]
	v_fma_f64 v[122:123], v[114:115], s[18:19], -v[118:119]
	v_fma_f64 v[112:113], v[114:115], s[18:19], v[118:119]
	v_add_f64 v[104:105], v[122:123], v[104:105]
	v_mul_f64 v[122:123], v[220:221], s[34:35]
	v_add_f64 v[110:111], v[112:113], v[110:111]
	v_fma_f64 v[124:125], v[120:121], s[18:19], v[122:123]
	v_fma_f64 v[112:113], v[120:121], s[18:19], -v[122:123]
	v_add_f64 v[106:107], v[124:125], v[106:107]
	v_mul_f64 v[124:125], v[222:223], s[44:45]
	v_add_f64 v[108:109], v[112:113], v[108:109]
	v_fma_f64 v[130:131], v[126:127], s[8:9], -v[124:125]
	v_fma_f64 v[112:113], v[126:127], s[8:9], v[124:125]
	v_add_f64 v[104:105], v[130:131], v[104:105]
	v_mul_f64 v[130:131], v[224:225], s[44:45]
	v_add_f64 v[110:111], v[112:113], v[110:111]
	v_fma_f64 v[134:135], v[144:145], s[8:9], v[130:131]
	v_fma_f64 v[112:113], v[144:145], s[8:9], -v[130:131]
	v_add_f64 v[106:107], v[134:135], v[106:107]
	v_mul_f64 v[134:135], v[226:227], s[30:31]
	v_add_f64 v[108:109], v[112:113], v[108:109]
	v_mul_f64 v[226:227], v[240:241], s[38:39]
	v_fma_f64 v[136:137], v[146:147], s[24:25], -v[134:135]
	v_fma_f64 v[112:113], v[146:147], s[24:25], v[134:135]
	v_fma_f64 v[116:117], v[148:149], s[20:21], -v[226:227]
	v_add_f64 v[104:105], v[136:137], v[104:105]
	v_mul_f64 v[136:137], v[228:229], s[30:31]
	v_add_f64 v[110:111], v[112:113], v[110:111]
	v_fma_f64 v[140:141], v[170:171], s[24:25], v[136:137]
	v_fma_f64 v[112:113], v[170:171], s[24:25], -v[136:137]
	v_add_f64 v[106:107], v[140:141], v[106:107]
	v_mul_f64 v[140:141], v[230:231], s[40:41]
	v_add_f64 v[108:109], v[112:113], v[108:109]
	v_fma_f64 v[218:219], v[154:155], s[10:11], -v[140:141]
	v_fma_f64 v[112:113], v[154:155], s[10:11], v[140:141]
	v_add_f64 v[104:105], v[218:219], v[104:105]
	v_mul_f64 v[218:219], v[232:233], s[40:41]
	v_add_f64 v[110:111], v[112:113], v[110:111]
	v_fma_f64 v[220:221], v[166:167], s[10:11], v[218:219]
	v_fma_f64 v[112:113], v[166:167], s[10:11], -v[218:219]
	v_add_f64 v[106:107], v[220:221], v[106:107]
	v_mul_f64 v[220:221], v[234:235], s[26:27]
	v_add_f64 v[108:109], v[112:113], v[108:109]
	v_fma_f64 v[222:223], v[156:157], s[22:23], -v[220:221]
	v_fma_f64 v[112:113], v[156:157], s[22:23], v[220:221]
	;; [unrolled: 10-line block ×3, first 2 shown]
	v_add_f64 v[104:105], v[228:229], v[104:105]
	v_fma_f64 v[228:229], v[148:149], s[20:21], v[226:227]
	v_add_f64 v[108:109], v[108:109], v[110:111]
	v_add_f64 v[110:111], v[116:117], v[112:113]
	;; [unrolled: 1-line block ×3, first 2 shown]
	s_and_saveexec_b32 s4, vcc_lo
	s_cbranch_execz .LBB0_7
; %bb.6:
	s_clause 0x1
	buffer_load_dword v0, off, s[60:63], 0 offset:632
	buffer_load_dword v1, off, s[60:63], 0 offset:636
	v_add_f64 v[44:45], v[20:21], v[44:45]
	v_add_f64 v[46:47], v[22:23], v[46:47]
	v_mul_f64 v[124:125], v[98:99], s[18:19]
	v_mul_f64 v[136:137], v[126:127], s[10:11]
	;; [unrolled: 1-line block ×17, first 2 shown]
	v_add_f64 v[44:45], v[44:45], v[52:53]
	v_add_f64 v[46:47], v[46:47], v[54:55]
	v_mul_f64 v[52:53], v[132:133], s[20:21]
	v_mul_f64 v[54:55], v[128:129], s[20:21]
	v_add_f64 v[134:135], v[134:135], -v[142:143]
	v_mul_f64 v[142:143], v[96:97], s[18:19]
	v_add_f64 v[122:123], v[150:151], v[122:123]
	v_mul_f64 v[150:151], v[170:171], s[10:11]
	v_add_f64 v[118:119], v[152:153], v[118:119]
	v_mul_f64 v[152:153], v[144:145], s[0:1]
	v_add_f64 v[116:117], v[160:161], v[116:117]
	v_mul_f64 v[160:161], v[98:99], s[16:17]
	v_add_f64 v[130:131], v[130:131], -v[164:165]
	v_mul_f64 v[164:165], v[146:147], s[10:11]
	v_add_f64 v[112:113], v[174:175], v[112:113]
	v_mul_f64 v[174:175], v[96:97], s[16:17]
	v_add_f64 v[44:45], v[44:45], v[56:57]
	v_mul_f64 v[56:57], v[132:133], s[10:11]
	v_add_f64 v[46:47], v[46:47], v[58:59]
	;; [unrolled: 8-line block ×3, first 2 shown]
	v_mul_f64 v[62:63], v[128:129], s[8:9]
	v_add_f64 v[54:55], v[20:21], v[54:55]
	v_add_f64 v[52:53], v[22:23], v[52:53]
	;; [unrolled: 1-line block ×3, first 2 shown]
	v_mul_f64 v[68:69], v[132:133], s[0:1]
	v_add_f64 v[46:47], v[46:47], v[70:71]
	v_mul_f64 v[70:71], v[128:129], s[0:1]
	v_add_f64 v[44:45], v[44:45], v[72:73]
	;; [unrolled: 2-line block ×5, first 2 shown]
	v_add_f64 v[74:75], v[194:195], v[74:75]
	v_mul_f64 v[194:195], v[144:145], s[16:17]
	v_add_f64 v[72:73], v[200:201], v[72:73]
	v_mul_f64 v[200:201], v[146:147], s[18:19]
	v_mul_f64 v[78:79], v[138:139], s[10:11]
	v_add_f64 v[44:45], v[44:45], v[84:85]
	v_add_f64 v[76:77], v[188:189], v[76:77]
	;; [unrolled: 1-line block ×3, first 2 shown]
	v_mul_f64 v[86:87], v[126:127], s[18:19]
	v_mul_f64 v[188:189], v[114:115], s[16:17]
	;; [unrolled: 1-line block ×3, first 2 shown]
	v_add_f64 v[78:79], v[78:79], -v[206:207]
	v_mul_f64 v[206:207], v[96:97], s[20:21]
	v_add_f64 v[44:45], v[44:45], v[88:89]
	v_mul_f64 v[88:89], v[114:115], s[0:1]
	v_add_f64 v[46:47], v[46:47], v[90:91]
	v_mul_f64 v[90:91], v[96:97], s[22:23]
	v_add_f64 v[86:87], v[86:87], -v[186:187]
	v_mul_f64 v[186:187], v[126:127], s[22:23]
	v_add_f64 v[84:85], v[84:85], -v[192:193]
	v_mul_f64 v[192:193], v[170:171], s[18:19]
	v_add_f64 v[44:45], v[44:45], v[92:93]
	v_mul_f64 v[92:93], v[148:149], s[24:25]
	v_add_f64 v[46:47], v[46:47], v[94:95]
	v_mul_f64 v[94:95], v[162:163], s[0:1]
	v_add_f64 v[90:91], v[90:91], -v[182:183]
	v_mul_f64 v[182:183], v[98:99], s[24:25]
	v_add_f64 v[88:89], v[88:89], -v[184:185]
	v_mul_f64 v[184:185], v[146:147], s[8:9]
	v_mul_f64 v[146:147], v[146:147], s[22:23]
	v_add_f64 v[44:45], v[44:45], v[80:81]
	v_add_f64 v[92:93], v[180:181], v[92:93]
	;; [unrolled: 1-line block ×4, first 2 shown]
	v_mul_f64 v[178:179], v[144:145], s[22:23]
	v_mul_f64 v[180:181], v[120:121], s[16:17]
	;; [unrolled: 1-line block ×6, first 2 shown]
	v_add_f64 v[32:33], v[44:45], v[32:33]
	v_mul_f64 v[44:45], v[132:133], s[22:23]
	v_add_f64 v[34:35], v[46:47], v[34:35]
	v_mul_f64 v[46:47], v[128:129], s[22:23]
	v_add_f64 v[82:83], v[82:83], -v[198:199]
	v_mul_f64 v[198:199], v[98:99], s[20:21]
	v_add_f64 v[80:81], v[80:81], -v[202:203]
	v_mul_f64 v[202:203], v[126:127], s[16:17]
	v_mul_f64 v[98:99], v[98:99], s[8:9]
	;; [unrolled: 1-line block ×3, first 2 shown]
	v_add_f64 v[28:29], v[32:33], v[28:29]
	v_mul_f64 v[32:33], v[132:133], s[24:25]
	v_mul_f64 v[132:133], v[154:155], s[20:21]
	v_add_f64 v[30:31], v[34:35], v[30:31]
	v_mul_f64 v[34:35], v[128:129], s[24:25]
	v_mul_f64 v[128:129], v[138:139], s[24:25]
	v_add_f64 v[46:47], v[46:47], -v[190:191]
	v_mul_f64 v[190:191], v[96:97], s[24:25]
	v_add_f64 v[44:45], v[196:197], v[44:45]
	v_mul_f64 v[196:197], v[120:121], s[24:25]
	v_mul_f64 v[96:97], v[96:97], s[8:9]
	v_add_f64 v[24:25], v[28:29], v[24:25]
	v_add_f64 v[32:33], v[216:217], v[32:33]
	v_add_f64 v[132:133], v[132:133], -v[158:159]
	v_mul_f64 v[158:159], v[120:121], s[22:23]
	v_add_f64 v[34:35], v[34:35], -v[214:215]
	v_add_f64 v[128:129], v[128:129], -v[172:173]
	v_mul_f64 v[172:173], v[114:115], s[22:23]
	v_add_f64 v[46:47], v[20:21], v[46:47]
	v_mul_f64 v[120:121], v[120:121], s[10:11]
	v_add_f64 v[44:45], v[22:23], v[44:45]
	v_add_f64 v[26:27], v[30:31], v[26:27]
	v_mul_f64 v[30:31], v[162:163], s[16:17]
	v_mul_f64 v[28:29], v[148:149], s[10:11]
	;; [unrolled: 1-line block ×5, first 2 shown]
	v_add_f64 v[32:33], v[22:23], v[32:33]
	v_add_f64 v[34:35], v[20:21], v[34:35]
	;; [unrolled: 1-line block ×3, first 2 shown]
	s_waitcnt vmcnt(0)
	v_add_f64 v[56:57], v[0:1], v[56:57]
	s_clause 0x1
	buffer_load_dword v0, off, s[60:63], 0 offset:624
	buffer_load_dword v1, off, s[60:63], 0 offset:628
	v_mul_f64 v[210:211], v[154:155], s[18:19]
	v_add_f64 v[28:29], v[212:213], v[28:29]
	v_mul_f64 v[212:213], v[166:167], s[0:1]
	v_mul_f64 v[154:155], v[154:155], s[24:25]
	v_add_f64 v[32:33], v[76:77], v[32:33]
	v_mul_f64 v[76:77], v[138:139], s[8:9]
	v_add_f64 v[34:35], v[90:91], v[34:35]
	v_add_f64 v[56:57], v[22:23], v[56:57]
	v_add_f64 v[32:33], v[74:75], v[32:33]
	v_mul_f64 v[74:75], v[148:149], s[18:19]
	v_add_f64 v[34:35], v[88:89], v[34:35]
	v_add_f64 v[88:89], v[24:25], v[16:17]
	;; [unrolled: 4-line block ×3, first 2 shown]
	v_add_f64 v[12:13], v[88:89], v[12:13]
	v_add_f64 v[34:35], v[84:85], v[34:35]
	v_mul_f64 v[84:85], v[138:139], s[16:17]
	v_add_f64 v[14:15], v[86:87], v[14:15]
	v_add_f64 v[34:35], v[82:83], v[34:35]
	v_mul_f64 v[82:83], v[148:149], s[16:17]
	s_waitcnt vmcnt(0)
	v_add_f64 v[58:59], v[58:59], -v[0:1]
	s_clause 0x1
	buffer_load_dword v0, off, s[60:63], 0 offset:560
	buffer_load_dword v1, off, s[60:63], 0 offset:564
	v_add_f64 v[58:59], v[20:21], v[58:59]
	s_waitcnt vmcnt(0)
	v_add_f64 v[60:61], v[0:1], v[60:61]
	s_clause 0x1
	buffer_load_dword v0, off, s[60:63], 0 offset:544
	buffer_load_dword v1, off, s[60:63], 0 offset:548
	v_add_f64 v[60:61], v[22:23], v[60:61]
	s_waitcnt vmcnt(0)
	v_add_f64 v[62:63], v[62:63], -v[0:1]
	s_clause 0x1
	buffer_load_dword v0, off, s[60:63], 0 offset:112
	buffer_load_dword v1, off, s[60:63], 0 offset:116
	v_add_f64 v[62:63], v[20:21], v[62:63]
	s_waitcnt vmcnt(0)
	v_add_f64 v[68:69], v[0:1], v[68:69]
	s_clause 0x1
	buffer_load_dword v0, off, s[60:63], 0 offset:96
	buffer_load_dword v1, off, s[60:63], 0 offset:100
	v_add_f64 v[22:23], v[22:23], v[68:69]
	v_mul_f64 v[68:69], v[166:167], s[8:9]
	v_add_f64 v[68:69], v[208:209], v[68:69]
	v_mul_f64 v[208:209], v[166:167], s[18:19]
	v_mul_f64 v[166:167], v[166:167], s[24:25]
	s_waitcnt vmcnt(0)
	v_add_f64 v[70:71], v[70:71], -v[0:1]
	s_clause 0x1
	buffer_load_dword v0, off, s[60:63], 0 offset:664
	buffer_load_dword v1, off, s[60:63], 0 offset:668
	v_add_f64 v[20:21], v[20:21], v[70:71]
	v_mul_f64 v[70:71], v[170:171], s[20:21]
	v_mul_f64 v[170:171], v[170:171], s[22:23]
	v_add_f64 v[70:71], v[204:205], v[70:71]
	v_mul_f64 v[204:205], v[114:115], s[24:25]
	v_mul_f64 v[114:115], v[114:115], s[10:11]
	v_add_f64 v[32:33], v[70:71], v[32:33]
	v_mul_f64 v[70:71], v[148:149], s[0:1]
	v_add_f64 v[32:33], v[68:69], v[32:33]
	;; [unrolled: 2-line block ×3, first 2 shown]
	v_add_f64 v[32:33], v[80:81], v[34:35]
	v_add_f64 v[68:69], v[68:69], -v[2:3]
	v_add_f64 v[18:19], v[28:29], v[30:31]
	v_add_f64 v[16:17], v[78:79], v[32:33]
	s_waitcnt vmcnt(0)
	v_add_f64 v[124:125], v[0:1], v[124:125]
	s_clause 0x1
	buffer_load_dword v0, off, s[60:63], 0 offset:656
	buffer_load_dword v1, off, s[60:63], 0 offset:660
	v_add_f64 v[44:45], v[124:125], v[44:45]
	v_add_f64 v[44:45], v[122:123], v[44:45]
	;; [unrolled: 1-line block ×6, first 2 shown]
	s_waitcnt vmcnt(0)
	v_add_f64 v[136:137], v[136:137], -v[0:1]
	s_clause 0x1
	buffer_load_dword v0, off, s[60:63], 0 offset:648
	buffer_load_dword v1, off, s[60:63], 0 offset:652
	s_waitcnt vmcnt(0)
	v_add_f64 v[140:141], v[140:141], -v[0:1]
	s_clause 0x1
	buffer_load_dword v0, off, s[60:63], 0 offset:640
	buffer_load_dword v1, off, s[60:63], 0 offset:644
	;; [unrolled: 5-line block ×3, first 2 shown]
	v_add_f64 v[46:47], v[142:143], v[46:47]
	v_add_f64 v[46:47], v[140:141], v[46:47]
	;; [unrolled: 1-line block ×6, first 2 shown]
	s_waitcnt vmcnt(0)
	v_add_f64 v[150:151], v[0:1], v[150:151]
	s_clause 0x1
	buffer_load_dword v0, off, s[60:63], 0 offset:608
	buffer_load_dword v1, off, s[60:63], 0 offset:612
	s_waitcnt vmcnt(0)
	v_add_f64 v[152:153], v[0:1], v[152:153]
	s_clause 0x1
	buffer_load_dword v0, off, s[60:63], 0 offset:592
	buffer_load_dword v1, off, s[60:63], 0 offset:596
	s_waitcnt vmcnt(0)
	v_add_f64 v[158:159], v[0:1], v[158:159]
	s_clause 0x1
	buffer_load_dword v0, off, s[60:63], 0 offset:576
	buffer_load_dword v1, off, s[60:63], 0 offset:580
	s_waitcnt vmcnt(0)
	v_add_f64 v[160:161], v[0:1], v[160:161]
	s_clause 0x1
	buffer_load_dword v0, off, s[60:63], 0 offset:600
	buffer_load_dword v1, off, s[60:63], 0 offset:604
	v_add_f64 v[52:53], v[160:161], v[52:53]
	v_add_f64 v[52:53], v[158:159], v[52:53]
	v_add_f64 v[52:53], v[152:153], v[52:53]
	v_add_f64 v[52:53], v[150:151], v[52:53]
	s_waitcnt vmcnt(0)
	v_add_f64 v[164:165], v[164:165], -v[0:1]
	s_clause 0x1
	buffer_load_dword v0, off, s[60:63], 0 offset:584
	buffer_load_dword v1, off, s[60:63], 0 offset:588
	s_waitcnt vmcnt(0)
	v_add_f64 v[168:169], v[168:169], -v[0:1]
	s_clause 0x1
	buffer_load_dword v0, off, s[60:63], 0 offset:568
	buffer_load_dword v1, off, s[60:63], 0 offset:572
	s_waitcnt vmcnt(0)
	v_add_f64 v[172:173], v[172:173], -v[0:1]
	s_clause 0x1
	buffer_load_dword v0, off, s[60:63], 0 offset:552
	buffer_load_dword v1, off, s[60:63], 0 offset:556
	s_waitcnt vmcnt(0)
	v_add_f64 v[174:175], v[174:175], -v[0:1]
	s_clause 0x1
	buffer_load_dword v0, off, s[60:63], 0 offset:520
	buffer_load_dword v1, off, s[60:63], 0 offset:524
	v_add_f64 v[54:55], v[174:175], v[54:55]
	v_add_f64 v[54:55], v[172:173], v[54:55]
	v_add_f64 v[54:55], v[168:169], v[54:55]
	v_add_f64 v[54:55], v[164:165], v[54:55]
	s_waitcnt vmcnt(0)
	v_add_f64 v[176:177], v[0:1], v[176:177]
	s_clause 0x1
	buffer_load_dword v0, off, s[60:63], 0 offset:488
	buffer_load_dword v1, off, s[60:63], 0 offset:492
	s_waitcnt vmcnt(0)
	v_add_f64 v[178:179], v[0:1], v[178:179]
	s_clause 0x1
	buffer_load_dword v0, off, s[60:63], 0 offset:472
	buffer_load_dword v1, off, s[60:63], 0 offset:476
	s_waitcnt vmcnt(0)
	v_add_f64 v[180:181], v[0:1], v[180:181]
	s_clause 0x1
	buffer_load_dword v0, off, s[60:63], 0 offset:448
	buffer_load_dword v1, off, s[60:63], 0 offset:452
	s_waitcnt vmcnt(0)
	v_add_f64 v[182:183], v[0:1], v[182:183]
	s_clause 0x1
	buffer_load_dword v0, off, s[60:63], 0 offset:480
	buffer_load_dword v1, off, s[60:63], 0 offset:484
	v_add_f64 v[56:57], v[182:183], v[56:57]
	v_add_f64 v[56:57], v[180:181], v[56:57]
	v_add_f64 v[56:57], v[178:179], v[56:57]
	v_add_f64 v[56:57], v[176:177], v[56:57]
	s_waitcnt vmcnt(0)
	v_add_f64 v[184:185], v[184:185], -v[0:1]
	s_clause 0x1
	buffer_load_dword v0, off, s[60:63], 0 offset:464
	buffer_load_dword v1, off, s[60:63], 0 offset:468
	s_waitcnt vmcnt(0)
	v_add_f64 v[186:187], v[186:187], -v[0:1]
	s_clause 0x1
	buffer_load_dword v0, off, s[60:63], 0 offset:440
	buffer_load_dword v1, off, s[60:63], 0 offset:444
	s_waitcnt vmcnt(0)
	v_add_f64 v[188:189], v[188:189], -v[0:1]
	s_clause 0x1
	buffer_load_dword v0, off, s[60:63], 0 offset:432
	buffer_load_dword v1, off, s[60:63], 0 offset:436
	s_waitcnt vmcnt(0)
	v_add_f64 v[190:191], v[190:191], -v[0:1]
	s_clause 0x1
	buffer_load_dword v0, off, s[60:63], 0 offset:392
	buffer_load_dword v1, off, s[60:63], 0 offset:396
	v_add_f64 v[58:59], v[190:191], v[58:59]
	v_add_f64 v[58:59], v[188:189], v[58:59]
	v_add_f64 v[58:59], v[186:187], v[58:59]
	v_add_f64 v[58:59], v[184:185], v[58:59]
	;; [unrolled: 48-line block ×3, first 2 shown]
	s_waitcnt vmcnt(0)
	v_add_f64 v[144:145], v[0:1], v[144:145]
	s_clause 0x1
	buffer_load_dword v0, off, s[60:63], 0 offset:64
	buffer_load_dword v1, off, s[60:63], 0 offset:68
	s_waitcnt vmcnt(0)
	v_add_f64 v[120:121], v[0:1], v[120:121]
	s_clause 0x1
	buffer_load_dword v0, off, s[60:63], 0 offset:40
	buffer_load_dword v1, off, s[60:63], 0 offset:44
	;; [unrolled: 5-line block ×3, first 2 shown]
	v_add_f64 v[22:23], v[98:99], v[22:23]
	v_add_f64 v[22:23], v[120:121], v[22:23]
	;; [unrolled: 1-line block ×3, first 2 shown]
	s_waitcnt vmcnt(0)
	v_add_f64 v[126:127], v[126:127], -v[0:1]
	s_clause 0x1
	buffer_load_dword v0, off, s[60:63], 0 offset:32
	buffer_load_dword v1, off, s[60:63], 0 offset:36
	s_waitcnt vmcnt(0)
	v_add_f64 v[96:97], v[96:97], -v[0:1]
	s_clause 0x1
	buffer_load_dword v0, off, s[60:63], 0 offset:48
	buffer_load_dword v1, off, s[60:63], 0 offset:52
	v_add_f64 v[20:21], v[96:97], v[20:21]
	s_waitcnt vmcnt(0)
	v_add_f64 v[114:115], v[114:115], -v[0:1]
	s_clause 0x1
	buffer_load_dword v0, off, s[60:63], 0 offset:256
	buffer_load_dword v1, off, s[60:63], 0 offset:260
	v_add_f64 v[20:21], v[114:115], v[20:21]
	v_add_f64 v[20:21], v[126:127], v[20:21]
	s_waitcnt vmcnt(0)
	v_add_f64 v[170:171], v[0:1], v[170:171]
	s_clause 0x1
	buffer_load_dword v0, off, s[60:63], 0 offset:144
	buffer_load_dword v1, off, s[60:63], 0 offset:148
	v_add_f64 v[22:23], v[170:171], v[22:23]
	s_waitcnt vmcnt(0)
	v_add_f64 v[146:147], v[146:147], -v[0:1]
	s_clause 0x1
	buffer_load_dword v0, off, s[60:63], 0 offset:536
	buffer_load_dword v1, off, s[60:63], 0 offset:540
	v_add_f64 v[20:21], v[146:147], v[20:21]
	s_waitcnt vmcnt(0)
	v_add_f64 v[208:209], v[0:1], v[208:209]
	s_clause 0x1
	buffer_load_dword v0, off, s[60:63], 0 offset:528
	buffer_load_dword v1, off, s[60:63], 0 offset:532
	v_add_f64 v[52:53], v[208:209], v[52:53]
	s_waitcnt vmcnt(0)
	v_add_f64 v[210:211], v[210:211], -v[0:1]
	s_clause 0x1
	buffer_load_dword v0, off, s[60:63], 0 offset:424
	buffer_load_dword v1, off, s[60:63], 0 offset:428
	;; [unrolled: 12-line block ×8, first 2 shown]
	v_add_f64 v[62:63], v[230:231], v[62:63]
	v_add_f64 v[32:33], v[68:69], v[62:63]
	s_waitcnt vmcnt(0)
	v_add_f64 v[162:163], v[0:1], v[162:163]
	s_clause 0x1
	buffer_load_dword v0, off, s[60:63], 0 offset:192
	buffer_load_dword v1, off, s[60:63], 0 offset:196
	v_add_f64 v[60:61], v[162:163], v[22:23]
	v_add_f64 v[22:23], v[92:93], v[34:35]
	s_waitcnt vmcnt(0)
	v_add_f64 v[156:157], v[156:157], -v[0:1]
	s_clause 0x1
	buffer_load_dword v0, off, s[60:63], 0 offset:496
	buffer_load_dword v1, off, s[60:63], 0 offset:500
	v_add_f64 v[20:21], v[156:157], v[20:21]
	s_waitcnt vmcnt(0)
	v_add_f64 v[232:233], v[0:1], v[232:233]
	s_clause 0x1
	buffer_load_dword v0, off, s[60:63], 0 offset:456
	buffer_load_dword v1, off, s[60:63], 0 offset:460
	v_add_f64 v[26:27], v[232:233], v[44:45]
	s_waitcnt vmcnt(0)
	v_add_f64 v[76:77], v[76:77], -v[0:1]
	s_clause 0x1
	buffer_load_dword v0, off, s[60:63], 0 offset:368
	buffer_load_dword v1, off, s[60:63], 0 offset:372
	v_add_f64 v[24:25], v[76:77], v[54:55]
	s_waitcnt vmcnt(0)
	v_add_f64 v[74:75], v[0:1], v[74:75]
	s_clause 0x1
	buffer_load_dword v0, off, s[60:63], 0 offset:328
	buffer_load_dword v1, off, s[60:63], 0 offset:332
	;; [unrolled: 12-line block ×3, first 2 shown]
	v_add_f64 v[34:35], v[70:71], v[56:57]
	s_waitcnt vmcnt(0)
	v_add_f64 v[82:83], v[0:1], v[82:83]
	s_clause 0x1
	buffer_load_dword v0, off, s[60:63], 0 offset:128
	buffer_load_dword v1, off, s[60:63], 0 offset:132
	v_add_f64 v[46:47], v[82:83], v[60:61]
	s_waitcnt vmcnt(0)
	v_add_f64 v[84:85], v[84:85], -v[0:1]
	buffer_load_dword v1, off, s[60:63], 0 offset:28 ; 4-byte Folded Reload
	v_mov_b32_e32 v0, 4
	v_add_f64 v[44:45], v[84:85], v[20:21]
	v_add_f64 v[20:21], v[128:129], v[80:81]
	s_waitcnt vmcnt(0)
	v_lshlrev_b32_sdwa v0, v0, v1 dst_sel:DWORD dst_unused:UNUSED_PAD src0_sel:DWORD src1_sel:WORD_0
	ds_write_b128 v0, v[36:39] offset:112
	ds_write_b128 v0, v[104:107] offset:128
	;; [unrolled: 1-line block ×15, first 2 shown]
	ds_write_b128 v0, v[12:15]
	s_clause 0x3
	buffer_load_dword v12, off, s[60:63], 0 offset:12
	buffer_load_dword v13, off, s[60:63], 0 offset:16
	;; [unrolled: 1-line block ×4, first 2 shown]
	s_waitcnt vmcnt(0)
	ds_write_b128 v0, v[12:15] offset:256
.LBB0_7:
	s_or_b32 exec_lo, exec_lo, s4
	s_waitcnt lgkmcnt(0)
	s_waitcnt_vscnt null, 0x0
	s_barrier
	buffer_gl0_inv
	ds_read_b128 v[44:47], v255
	ds_read_b128 v[72:75], v255 offset:2992
	ds_read_b128 v[68:71], v255 offset:5984
	;; [unrolled: 1-line block ×6, first 2 shown]
	buffer_load_dword v0, off, s[60:63], 0  ; 4-byte Folded Reload
	s_waitcnt vmcnt(0)
	v_cmp_gt_u16_e64 s0, 0x44, v0
	s_and_saveexec_b32 s1, s0
	s_cbranch_execz .LBB0_9
; %bb.8:
	ds_read_b128 v[36:39], v255 offset:1904
	ds_read_b128 v[104:107], v255 offset:4896
	;; [unrolled: 1-line block ×7, first 2 shown]
.LBB0_9:
	s_or_b32 exec_lo, exec_lo, s1
	buffer_load_dword v12, off, s[60:63], 0 ; 4-byte Folded Reload
	s_mov_b32 s16, 0x37e14327
	s_mov_b32 s4, 0x36b3c0b5
	s_mov_b32 s24, 0xe976ee23
	s_mov_b32 s8, 0x429ad128
	s_mov_b32 s17, 0x3fe948f6
	s_mov_b32 s5, 0x3fac98ee
	s_mov_b32 s25, 0xbfe11646
	s_mov_b32 s9, 0x3febfeb5
	s_mov_b32 s10, 0xaaaaaaaa
	s_mov_b32 s22, 0x5476071b
	s_mov_b32 s26, 0xb247c609
	s_mov_b32 s11, 0xbff2aaaa
	s_mov_b32 s23, 0x3fe77f67
	s_mov_b32 s19, 0xbfe77f67
	s_mov_b32 s27, 0x3fd5d0dc
	s_mov_b32 s29, 0xbfd5d0dc
	s_mov_b32 s18, s22
	s_mov_b32 s28, s26
	s_mov_b32 s20, 0x37c3f68c
	s_mov_b32 s21, 0x3fdc38aa
	s_waitcnt vmcnt(0)
	v_and_b32_e32 v0, 0xff, v12
	v_add_nc_u16 v1, v12, 0x77
	v_mul_lo_u16 v0, 0xf1, v0
	v_and_b32_e32 v2, 0xff, v1
	v_lshrrev_b16 v0, 12, v0
	v_mul_lo_u16 v2, 0xf1, v2
	v_mul_lo_u16 v3, v0, 17
	v_sub_nc_u16 v3, v12, v3
	v_lshrrev_b16 v12, 12, v2
	v_and_b32_e32 v2, 0xff, v3
	v_mul_lo_u16 v3, v12, 17
	buffer_store_dword v12, off, s[60:63], 0 offset:32 ; 4-byte Folded Spill
	v_mul_u32_u24_e32 v12, 6, v2
	v_sub_nc_u16 v1, v1, v3
	v_lshlrev_b32_e32 v3, 4, v12
	v_and_b32_e32 v1, 0xff, v1
	s_clause 0x1
	global_load_dwordx4 v[92:95], v3, s[2:3]
	global_load_dwordx4 v[88:91], v3, s[2:3] offset:16
	buffer_store_dword v1, off, s[60:63], 0 offset:40 ; 4-byte Folded Spill
	v_mul_u32_u24_e32 v1, 6, v1
	s_clause 0x1
	global_load_dwordx4 v[80:83], v3, s[2:3] offset:32
	global_load_dwordx4 v[96:99], v3, s[2:3] offset:80
	v_lshlrev_b32_e32 v1, 4, v1
	s_clause 0x7
	global_load_dwordx4 v[160:163], v3, s[2:3] offset:64
	global_load_dwordx4 v[84:87], v3, s[2:3] offset:48
	global_load_dwordx4 v[32:35], v1, s[2:3]
	global_load_dwordx4 v[28:31], v1, s[2:3] offset:16
	global_load_dwordx4 v[24:27], v1, s[2:3] offset:32
	;; [unrolled: 1-line block ×5, first 2 shown]
	s_waitcnt vmcnt(11) lgkmcnt(5)
	v_mul_f64 v[12:13], v[74:75], v[94:95]
	s_waitcnt vmcnt(10) lgkmcnt(4)
	v_mul_f64 v[16:17], v[70:71], v[90:91]
	v_mul_f64 v[14:15], v[72:73], v[94:95]
	s_waitcnt vmcnt(9) lgkmcnt(3)
	v_mul_f64 v[20:21], v[58:59], v[82:83]
	s_waitcnt vmcnt(8) lgkmcnt(0)
	v_mul_f64 v[116:117], v[114:115], v[98:99]
	s_waitcnt vmcnt(7)
	v_mul_f64 v[120:121], v[62:63], v[162:163]
	s_waitcnt vmcnt(6)
	;; [unrolled: 2-line block ×5, first 2 shown]
	v_mul_f64 v[140:141], v[42:43], v[154:155]
	v_mul_f64 v[18:19], v[68:69], v[90:91]
	s_waitcnt vmcnt(0)
	v_mul_f64 v[148:149], v[50:51], v[158:159]
	v_mul_f64 v[22:23], v[56:57], v[82:83]
	;; [unrolled: 1-line block ×11, first 2 shown]
	v_fma_f64 v[12:13], v[72:73], v[92:93], -v[12:13]
	buffer_store_dword v92, off, s[60:63], 0 offset:128 ; 4-byte Folded Spill
	buffer_store_dword v93, off, s[60:63], 0 offset:132 ; 4-byte Folded Spill
	buffer_store_dword v94, off, s[60:63], 0 offset:136 ; 4-byte Folded Spill
	buffer_store_dword v95, off, s[60:63], 0 offset:140 ; 4-byte Folded Spill
	v_fma_f64 v[16:17], v[68:69], v[88:89], -v[16:17]
	buffer_store_dword v88, off, s[60:63], 0 offset:112 ; 4-byte Folded Spill
	buffer_store_dword v89, off, s[60:63], 0 offset:116 ; 4-byte Folded Spill
	buffer_store_dword v90, off, s[60:63], 0 offset:120 ; 4-byte Folded Spill
	buffer_store_dword v91, off, s[60:63], 0 offset:124 ; 4-byte Folded Spill
	v_fma_f64 v[68:69], v[112:113], v[96:97], -v[116:117]
	buffer_store_dword v96, off, s[60:63], 0 offset:144 ; 4-byte Folded Spill
	buffer_store_dword v97, off, s[60:63], 0 offset:148 ; 4-byte Folded Spill
	buffer_store_dword v98, off, s[60:63], 0 offset:152 ; 4-byte Folded Spill
	buffer_store_dword v99, off, s[60:63], 0 offset:156 ; 4-byte Folded Spill
	v_fma_f64 v[60:61], v[60:61], v[160:161], -v[120:121]
	buffer_store_dword v160, off, s[60:63], 0 offset:160 ; 4-byte Folded Spill
	buffer_store_dword v161, off, s[60:63], 0 offset:164 ; 4-byte Folded Spill
	buffer_store_dword v162, off, s[60:63], 0 offset:168 ; 4-byte Folded Spill
	buffer_store_dword v163, off, s[60:63], 0 offset:172 ; 4-byte Folded Spill
	v_fma_f64 v[20:21], v[56:57], v[80:81], -v[20:21]
	v_fma_f64 v[52:53], v[52:53], v[84:85], -v[124:125]
	buffer_store_dword v84, off, s[60:63], 0 offset:96 ; 4-byte Folded Spill
	buffer_store_dword v85, off, s[60:63], 0 offset:100 ; 4-byte Folded Spill
	buffer_store_dword v86, off, s[60:63], 0 offset:104 ; 4-byte Folded Spill
	buffer_store_dword v87, off, s[60:63], 0 offset:108 ; 4-byte Folded Spill
	v_fma_f64 v[56:57], v[104:105], v[32:33], -v[128:129]
	buffer_store_dword v32, off, s[60:63], 0 offset:208 ; 4-byte Folded Spill
	buffer_store_dword v33, off, s[60:63], 0 offset:212 ; 4-byte Folded Spill
	buffer_store_dword v34, off, s[60:63], 0 offset:216 ; 4-byte Folded Spill
	buffer_store_dword v35, off, s[60:63], 0 offset:220 ; 4-byte Folded Spill
	;; [unrolled: 5-line block ×5, first 2 shown]
	v_mul_f64 v[138:139], v[100:101], v[26:27]
	v_mul_f64 v[146:147], v[64:65], v[78:79]
	v_fma_f64 v[100:101], v[100:101], v[24:25], -v[136:137]
	buffer_store_dword v24, off, s[60:63], 0 offset:176 ; 4-byte Folded Spill
	buffer_store_dword v25, off, s[60:63], 0 offset:180 ; 4-byte Folded Spill
	;; [unrolled: 1-line block ×4, first 2 shown]
	v_fma_f64 v[64:65], v[64:65], v[76:77], -v[144:145]
	buffer_store_dword v76, off, s[60:63], 0 offset:224 ; 4-byte Folded Spill
	buffer_store_dword v77, off, s[60:63], 0 offset:228 ; 4-byte Folded Spill
	;; [unrolled: 1-line block ×4, first 2 shown]
	v_fma_f64 v[22:23], v[58:59], v[80:81], v[22:23]
	v_add_f64 v[104:105], v[12:13], v[68:69]
	v_add_f64 v[12:13], v[12:13], -v[68:69]
	v_add_f64 v[108:109], v[16:17], v[60:61]
	v_add_f64 v[16:17], v[16:17], -v[60:61]
	;; [unrolled: 2-line block ×7, first 2 shown]
	v_add_f64 v[104:105], v[104:105], -v[68:69]
	v_add_f64 v[108:109], v[68:69], -v[108:109]
	v_add_f64 v[112:113], v[20:21], v[16:17]
	v_add_f64 v[116:117], v[20:21], -v[16:17]
	v_add_f64 v[16:17], v[16:17], -v[12:13]
	v_add_f64 v[20:21], v[12:13], -v[20:21]
	v_add_f64 v[120:121], v[56:57], v[52:53]
	v_add_f64 v[124:125], v[56:57], -v[52:53]
	;; [unrolled: 4-line block ×3, first 2 shown]
	v_add_f64 v[48:49], v[48:49], -v[40:41]
	v_add_f64 v[72:73], v[68:69], v[72:73]
	v_mul_f64 v[104:105], v[104:105], s[16:17]
	v_add_f64 v[12:13], v[112:113], v[12:13]
	v_mul_f64 v[112:113], v[108:109], s[4:5]
	v_mul_f64 v[116:117], v[116:117], s[24:25]
	v_add_f64 v[60:61], v[60:61], v[120:121]
	v_mul_f64 v[120:121], v[16:17], s[8:9]
	v_add_f64 v[128:129], v[128:129], v[40:41]
	v_fma_f64 v[108:109], v[108:109], s[4:5], v[104:105]
	v_fma_f64 v[112:113], v[100:101], s[22:23], -v[112:113]
	v_fma_f64 v[100:101], v[100:101], s[18:19], -v[104:105]
	v_fma_f64 v[104:105], v[20:21], s[26:27], v[116:117]
	v_fma_f64 v[16:17], v[16:17], s[8:9], -v[116:117]
	v_add_f64 v[36:37], v[36:37], v[60:61]
	v_fma_f64 v[20:21], v[20:21], s[28:29], -v[120:121]
	v_fma_f64 v[104:105], v[12:13], s[20:21], v[104:105]
	v_fma_f64 v[16:17], v[12:13], s[20:21], v[16:17]
	;; [unrolled: 1-line block ×14, first 2 shown]
	v_add_f64 v[106:107], v[14:15], v[70:71]
	v_add_f64 v[14:15], v[14:15], -v[70:71]
	v_add_f64 v[110:111], v[18:19], v[62:63]
	v_add_f64 v[18:19], v[18:19], -v[62:63]
	;; [unrolled: 2-line block ×7, first 2 shown]
	v_add_f64 v[106:107], v[106:107], -v[70:71]
	v_add_f64 v[110:111], v[70:71], -v[110:111]
	v_add_f64 v[114:115], v[22:23], v[18:19]
	v_add_f64 v[118:119], v[22:23], -v[18:19]
	v_add_f64 v[18:19], v[18:19], -v[14:15]
	v_add_f64 v[22:23], v[14:15], -v[22:23]
	v_add_f64 v[122:123], v[58:59], v[54:55]
	v_add_f64 v[126:127], v[58:59], -v[54:55]
	;; [unrolled: 4-line block ×3, first 2 shown]
	v_add_f64 v[50:51], v[50:51], -v[42:43]
	v_add_f64 v[69:70], v[70:71], v[74:75]
	v_add_f64 v[74:75], v[40:41], -v[64:65]
	v_add_f64 v[136:137], v[42:43], -v[66:67]
	v_mul_f64 v[106:107], v[106:107], s[16:17]
	v_mul_f64 v[40:41], v[52:53], s[16:17]
	v_add_f64 v[14:15], v[114:115], v[14:15]
	v_mul_f64 v[114:115], v[110:111], s[4:5]
	v_mul_f64 v[118:119], v[118:119], s[24:25]
	v_add_f64 v[65:66], v[44:45], v[72:73]
	;; [unrolled: 3-line block ×3, first 2 shown]
	v_mul_f64 v[122:123], v[18:19], s[8:9]
	v_mul_f64 v[132:133], v[48:49], s[8:9]
	v_mov_b32_e32 v64, 0x77
	v_add_f64 v[130:131], v[130:131], v[42:43]
	v_mul_f64 v[42:43], v[54:55], s[16:17]
	v_mul_f64 v[54:55], v[134:135], s[24:25]
	v_add_f64 v[67:68], v[46:47], v[69:70]
	v_mul_f64 v[46:47], v[58:59], s[4:5]
	v_mul_f64 v[134:135], v[50:51], s[8:9]
	v_fma_f64 v[110:111], v[110:111], s[4:5], v[106:107]
	v_fma_f64 v[56:57], v[56:57], s[4:5], v[40:41]
	v_mul_u32_u24_sdwa v0, v0, v64 dst_sel:DWORD dst_unused:UNUSED_PAD src0_sel:WORD_0 src1_sel:DWORD
	v_fma_f64 v[114:115], v[102:103], s[22:23], -v[114:115]
	v_fma_f64 v[102:103], v[102:103], s[18:19], -v[106:107]
	v_fma_f64 v[106:107], v[22:23], s[26:27], v[118:119]
	v_fma_f64 v[18:19], v[18:19], s[8:9], -v[118:119]
	v_fma_f64 v[71:72], v[72:73], s[10:11], v[65:66]
	v_add_f64 v[38:39], v[38:39], v[62:63]
	v_fma_f64 v[22:23], v[22:23], s[28:29], -v[122:123]
	v_fma_f64 v[118:119], v[124:125], s[22:23], -v[44:45]
	v_fma_f64 v[44:45], v[74:75], s[26:27], v[52:53]
	v_fma_f64 v[48:49], v[48:49], s[8:9], -v[52:53]
	v_fma_f64 v[52:53], v[74:75], s[28:29], -v[132:133]
	v_fma_f64 v[122:123], v[60:61], s[10:11], v[36:37]
	v_fma_f64 v[60:61], v[124:125], s[18:19], -v[40:41]
	v_add_lshl_u32 v184, v0, v2, 4
	v_fma_f64 v[116:117], v[58:59], s[4:5], v[42:43]
	v_fma_f64 v[50:51], v[50:51], s[8:9], -v[54:55]
	v_fma_f64 v[69:70], v[69:70], s[10:11], v[67:68]
	v_fma_f64 v[120:121], v[126:127], s[22:23], -v[46:47]
	;; [unrolled: 2-line block ×3, first 2 shown]
	v_fma_f64 v[124:125], v[126:127], s[18:19], -v[42:43]
	s_load_dwordx4 s[4:7], s[6:7], 0x0
	s_waitcnt lgkmcnt(0)
	s_waitcnt_vscnt null, 0x0
	s_barrier
	v_fma_f64 v[106:107], v[14:15], s[20:21], v[106:107]
	v_fma_f64 v[18:19], v[14:15], s[20:21], v[18:19]
	v_add_f64 v[20:21], v[108:109], v[71:72]
	v_fma_f64 v[132:133], v[62:63], s[10:11], v[38:39]
	v_fma_f64 v[14:15], v[14:15], s[20:21], v[22:23]
	v_add_f64 v[100:101], v[100:101], v[71:72]
	v_add_f64 v[108:109], v[112:113], v[71:72]
	v_fma_f64 v[44:45], v[128:129], s[20:21], v[44:45]
	v_fma_f64 v[58:59], v[128:129], s[20:21], v[48:49]
	v_fma_f64 v[54:55], v[128:129], s[20:21], v[52:53]
	v_add_f64 v[52:53], v[56:57], v[122:123]
	buffer_gl0_inv
	v_fma_f64 v[42:43], v[130:131], s[20:21], v[50:51]
	v_add_f64 v[22:23], v[110:111], v[69:70]
	v_add_f64 v[102:103], v[102:103], v[69:70]
	;; [unrolled: 1-line block ×3, first 2 shown]
	v_fma_f64 v[40:41], v[130:131], s[20:21], v[46:47]
	v_fma_f64 v[48:49], v[130:131], s[20:21], v[73:74]
	v_add_f64 v[46:47], v[118:119], v[122:123]
	v_add_f64 v[50:51], v[60:61], v[122:123]
	;; [unrolled: 1-line block ×7, first 2 shown]
	v_add_f64 v[116:117], v[108:109], -v[18:19]
	v_add_f64 v[120:121], v[18:19], v[108:109]
	v_add_f64 v[124:125], v[100:101], -v[14:15]
	v_add_f64 v[128:129], v[20:21], -v[106:107]
	;; [unrolled: 1-line block ×4, first 2 shown]
	v_add_f64 v[118:119], v[16:17], v[110:111]
	v_add_f64 v[122:123], v[110:111], -v[16:17]
	v_add_f64 v[126:127], v[12:13], v[102:103]
	v_add_f64 v[130:131], v[104:105], v[22:23]
	;; [unrolled: 1-line block ×3, first 2 shown]
	v_add_f64 v[104:105], v[50:51], -v[48:49]
	v_add_f64 v[100:101], v[52:53], -v[40:41]
	ds_write_b128 v184, v[65:68]
	ds_write_b128 v184, v[69:72] offset:272
	ds_write_b128 v184, v[112:115] offset:544
	;; [unrolled: 1-line block ×6, first 2 shown]
	v_add_f64 v[110:111], v[62:63], -v[58:59]
	v_add_f64 v[106:107], v[54:55], v[60:61]
	v_add_f64 v[102:103], v[44:45], v[56:57]
	s_and_saveexec_b32 s1, s0
	s_cbranch_execz .LBB0_11
; %bb.10:
	s_clause 0x1
	buffer_load_dword v0, off, s[60:63], 0 offset:32
	buffer_load_dword v1, off, s[60:63], 0 offset:40
	v_add_f64 v[58:59], v[58:59], v[62:63]
	v_add_f64 v[54:55], v[60:61], -v[54:55]
	v_add_f64 v[62:63], v[56:57], -v[44:45]
	v_add_f64 v[60:61], v[40:41], v[52:53]
	v_add_f64 v[52:53], v[48:49], v[50:51]
	v_add_f64 v[56:57], v[46:47], -v[42:43]
	s_waitcnt vmcnt(1)
	v_mul_u32_u24_sdwa v0, v0, v64 dst_sel:DWORD dst_unused:UNUSED_PAD src0_sel:WORD_0 src1_sel:DWORD
	s_waitcnt vmcnt(0)
	v_add_lshl_u32 v0, v0, v1, 4
	ds_write_b128 v0, v[36:39]
	ds_write_b128 v0, v[108:111] offset:1088
	ds_write_b128 v0, v[104:107] offset:1360
	;; [unrolled: 1-line block ×6, first 2 shown]
.LBB0_11:
	s_or_b32 exec_lo, exec_lo, s1
	buffer_load_dword v0, off, s[60:63], 0  ; 4-byte Folded Reload
	s_waitcnt vmcnt(0) lgkmcnt(0)
	s_barrier
	buffer_gl0_inv
	s_mov_b32 s24, 0xf8bb580b
	s_mov_b32 s20, 0x43842ef
	;; [unrolled: 1-line block ×24, first 2 shown]
	v_mad_u64_u32 v[12:13], null, 0xa0, v0, s[2:3]
	s_mov_b32 s2, 0xd9c712b6
	s_mov_b32 s3, 0x3fda9628
	s_clause 0x9
	global_load_dwordx4 v[48:51], v[12:13], off offset:1632
	global_load_dwordx4 v[96:99], v[12:13], off offset:1776
	;; [unrolled: 1-line block ×10, first 2 shown]
	ds_read_b128 v[112:115], v255 offset:1904
	ds_read_b128 v[116:119], v255 offset:19040
	ds_read_b128 v[120:123], v255
	ds_read_b128 v[124:127], v255 offset:3808
	ds_read_b128 v[128:131], v255 offset:5712
	;; [unrolled: 1-line block ×8, first 2 shown]
	s_waitcnt vmcnt(9) lgkmcnt(10)
	v_mul_f64 v[12:13], v[112:113], v[50:51]
	s_waitcnt vmcnt(8) lgkmcnt(9)
	v_mul_f64 v[14:15], v[116:117], v[98:99]
	v_mul_f64 v[16:17], v[114:115], v[50:51]
	;; [unrolled: 1-line block ×3, first 2 shown]
	s_waitcnt vmcnt(6) lgkmcnt(0)
	v_mul_f64 v[20:21], v[154:155], v[30:31]
	v_mul_f64 v[22:23], v[152:153], v[30:31]
	s_waitcnt vmcnt(4)
	v_mul_f64 v[158:159], v[150:151], v[2:3]
	v_mul_f64 v[162:163], v[148:149], v[2:3]
	s_waitcnt vmcnt(2)
	;; [unrolled: 3-line block ×3, first 2 shown]
	v_mul_f64 v[172:173], v[138:139], v[86:87]
	s_waitcnt vmcnt(0)
	v_mul_f64 v[176:177], v[142:143], v[74:75]
	v_mul_f64 v[164:165], v[134:135], v[94:95]
	;; [unrolled: 1-line block ×5, first 2 shown]
	v_fma_f64 v[12:13], v[114:115], v[48:49], v[12:13]
	v_fma_f64 v[114:115], v[118:119], v[96:97], v[14:15]
	v_fma_f64 v[14:15], v[112:113], v[48:49], -v[16:17]
	v_fma_f64 v[112:113], v[116:117], v[96:97], -v[18:19]
	v_mul_f64 v[16:17], v[126:127], v[68:69]
	v_mul_f64 v[116:117], v[130:131], v[26:27]
	;; [unrolled: 1-line block ×4, first 2 shown]
	v_fma_f64 v[20:21], v[152:153], v[28:29], -v[20:21]
	buffer_store_dword v28, off, s[60:63], 0 offset:80 ; 4-byte Folded Spill
	buffer_store_dword v29, off, s[60:63], 0 offset:84 ; 4-byte Folded Spill
	buffer_store_dword v30, off, s[60:63], 0 offset:88 ; 4-byte Folded Spill
	buffer_store_dword v31, off, s[60:63], 0 offset:92 ; 4-byte Folded Spill
	v_fma_f64 v[144:145], v[144:145], v[88:89], -v[168:169]
	v_fma_f64 v[146:147], v[146:147], v[88:89], v[170:171]
	v_fma_f64 v[136:137], v[136:137], v[84:85], -v[172:173]
	v_fma_f64 v[140:141], v[140:141], v[72:73], -v[176:177]
	;; [unrolled: 1-line block ×3, first 2 shown]
	v_fma_f64 v[134:135], v[134:135], v[92:93], v[166:167]
	v_fma_f64 v[138:139], v[138:139], v[84:85], v[174:175]
	;; [unrolled: 1-line block ×3, first 2 shown]
	v_add_f64 v[156:157], v[12:13], -v[114:115]
	v_add_f64 v[152:153], v[12:13], v[114:115]
	v_add_f64 v[160:161], v[14:15], -v[112:113]
	v_fma_f64 v[16:17], v[124:125], v[66:67], -v[16:17]
	v_fma_f64 v[124:125], v[128:129], v[24:25], -v[116:117]
	buffer_store_dword v24, off, s[60:63], 0 offset:64 ; 4-byte Folded Spill
	buffer_store_dword v25, off, s[60:63], 0 offset:68 ; 4-byte Folded Spill
	;; [unrolled: 1-line block ×4, first 2 shown]
	v_fma_f64 v[18:19], v[126:127], v[66:67], v[18:19]
	v_add_f64 v[116:117], v[14:15], v[112:113]
	v_add_f64 v[14:15], v[120:121], v[14:15]
	;; [unrolled: 1-line block ×5, first 2 shown]
	v_add_f64 v[207:208], v[134:135], -v[146:147]
	v_add_f64 v[213:214], v[132:133], -v[144:145]
	v_add_f64 v[215:216], v[134:135], v[146:147]
	v_add_f64 v[219:220], v[138:139], -v[142:143]
	v_add_f64 v[225:226], v[136:137], -v[140:141]
	v_add_f64 v[227:228], v[138:139], v[142:143]
	v_mul_f64 v[126:127], v[156:157], s[24:25]
	v_mul_f64 v[164:165], v[160:161], s[20:21]
	;; [unrolled: 1-line block ×3, first 2 shown]
	v_add_f64 v[191:192], v[16:17], v[20:21]
	v_add_f64 v[14:15], v[14:15], v[16:17]
	;; [unrolled: 1-line block ×3, first 2 shown]
	v_mul_f64 v[211:212], v[207:208], s[22:23]
	v_mul_f64 v[217:218], v[213:214], s[22:23]
	;; [unrolled: 1-line block ×3, first 2 shown]
	v_fma_f64 v[168:169], v[116:117], s[8:9], -v[126:127]
	v_fma_f64 v[126:127], v[116:117], s[8:9], v[126:127]
	v_fma_f64 v[182:183], v[152:153], s[18:19], v[166:167]
	v_fma_f64 v[166:167], v[152:153], s[18:19], -v[166:167]
	v_add_f64 v[14:15], v[14:15], v[124:125]
	v_add_f64 v[126:127], v[120:121], v[126:127]
	;; [unrolled: 1-line block ×6, first 2 shown]
	v_mul_f64 v[136:137], v[207:208], s[36:37]
	v_add_f64 v[14:15], v[14:15], v[140:141]
	v_fma_f64 v[251:252], v[209:210], s[10:11], -v[136:137]
	v_fma_f64 v[136:137], v[209:210], s[10:11], v[136:137]
	v_mul_f64 v[140:141], v[213:214], s[36:37]
	v_add_f64 v[14:15], v[14:15], v[144:145]
	v_mul_f64 v[144:145], v[219:220], s[30:31]
	v_fma_f64 v[30:31], v[215:216], s[10:11], -v[140:141]
	v_fma_f64 v[22:23], v[154:155], v[28:29], v[22:23]
	v_mul_f64 v[154:155], v[160:161], s[24:25]
	v_fma_f64 v[28:29], v[215:216], s[10:11], v[140:141]
	v_fma_f64 v[128:129], v[130:131], v[24:25], v[118:119]
	v_fma_f64 v[130:131], v[148:149], v[0:1], -v[158:159]
	buffer_store_dword v0, off, s[60:63], 0 offset:48 ; 4-byte Folded Spill
	buffer_store_dword v1, off, s[60:63], 0 offset:52 ; 4-byte Folded Spill
	;; [unrolled: 1-line block ×4, first 2 shown]
	v_mul_f64 v[118:119], v[156:157], s[16:17]
	v_mul_f64 v[148:149], v[156:157], s[20:21]
	;; [unrolled: 1-line block ×4, first 2 shown]
	v_add_f64 v[189:190], v[18:19], -v[22:23]
	v_fma_f64 v[174:175], v[152:153], s[8:9], v[154:155]
	v_fma_f64 v[154:155], v[152:153], s[8:9], -v[154:155]
	v_add_f64 v[193:194], v[18:19], v[22:23]
	v_add_f64 v[12:13], v[12:13], v[128:129]
	;; [unrolled: 1-line block ×3, first 2 shown]
	v_add_f64 v[201:202], v[124:125], -v[130:131]
	v_fma_f64 v[170:171], v[116:117], s[2:3], -v[118:119]
	v_fma_f64 v[118:119], v[116:117], s[2:3], v[118:119]
	v_fma_f64 v[172:173], v[116:117], s[10:11], -v[148:149]
	v_fma_f64 v[148:149], v[116:117], s[10:11], v[148:149]
	;; [unrolled: 2-line block ×4, first 2 shown]
	v_fma_f64 v[156:157], v[152:153], s[10:11], v[164:165]
	v_fma_f64 v[164:165], v[152:153], s[10:11], -v[164:165]
	v_add_f64 v[154:155], v[122:123], v[154:155]
	v_mul_f64 v[18:19], v[189:190], s[34:35]
	v_mul_f64 v[124:125], v[189:190], s[36:37]
	v_add_f64 v[14:15], v[14:15], v[130:131]
	v_mul_f64 v[130:131], v[225:226], s[30:31]
	v_add_f64 v[12:13], v[12:13], v[134:135]
	;; [unrolled: 2-line block ×4, first 2 shown]
	v_add_f64 v[148:149], v[120:121], v[148:149]
	v_add_f64 v[176:177], v[120:121], v[176:177]
	;; [unrolled: 1-line block ×5, first 2 shown]
	v_mul_f64 v[116:117], v[189:190], s[16:17]
	v_add_f64 v[156:157], v[122:123], v[156:157]
	v_add_f64 v[164:165], v[122:123], v[164:165]
	v_mul_f64 v[134:135], v[201:202], s[24:25]
	v_add_f64 v[14:15], v[14:15], v[20:21]
	v_add_f64 v[12:13], v[12:13], v[138:139]
	v_mul_f64 v[138:139], v[207:208], s[24:25]
	v_add_f64 v[112:113], v[14:15], v[112:113]
	v_add_f64 v[12:13], v[12:13], v[142:143]
	v_fma_f64 v[253:254], v[209:210], s[8:9], -v[138:139]
	v_fma_f64 v[138:139], v[209:210], s[8:9], v[138:139]
	v_mul_f64 v[142:143], v[213:214], s[24:25]
	v_add_f64 v[12:13], v[12:13], v[146:147]
	v_mul_f64 v[146:147], v[219:220], s[22:23]
	v_fma_f64 v[140:141], v[215:216], s[8:9], v[142:143]
	v_fma_f64 v[142:143], v[215:216], s[8:9], -v[142:143]
	v_fma_f64 v[150:151], v[150:151], v[0:1], v[162:163]
	v_mul_f64 v[162:163], v[160:161], s[16:17]
	v_mul_f64 v[160:161], v[160:161], s[28:29]
	v_add_f64 v[203:204], v[128:129], v[150:151]
	v_fma_f64 v[178:179], v[152:153], s[2:3], v[162:163]
	v_fma_f64 v[162:163], v[152:153], s[2:3], -v[162:163]
	v_fma_f64 v[185:186], v[152:153], s[26:27], v[160:161]
	v_fma_f64 v[152:153], v[152:153], s[26:27], -v[160:161]
	v_add_f64 v[160:161], v[120:121], v[168:169]
	v_add_f64 v[168:169], v[122:123], v[174:175]
	;; [unrolled: 1-line block ×3, first 2 shown]
	v_fma_f64 v[243:244], v[203:204], s[26:27], v[132:133]
	v_add_f64 v[174:175], v[122:123], v[178:179]
	v_add_f64 v[178:179], v[120:121], v[118:119]
	v_fma_f64 v[118:119], v[191:192], s[2:3], -v[116:117]
	v_add_f64 v[162:163], v[122:123], v[162:163]
	v_add_f64 v[185:186], v[122:123], v[185:186]
	;; [unrolled: 1-line block ×3, first 2 shown]
	v_fma_f64 v[116:117], v[191:192], s[2:3], v[116:117]
	v_fma_f64 v[132:133], v[203:204], s[26:27], -v[132:133]
	v_fma_f64 v[245:246], v[203:204], s[8:9], v[134:135]
	v_fma_f64 v[134:135], v[203:204], s[8:9], -v[134:135]
	v_add_f64 v[12:13], v[12:13], v[22:23]
	v_add_f64 v[118:119], v[118:119], v[160:161]
	v_add_f64 v[160:161], v[16:17], -v[20:21]
	v_mul_f64 v[16:17], v[189:190], s[22:23]
	v_add_f64 v[116:117], v[116:117], v[126:127]
	v_add_f64 v[114:115], v[12:13], v[114:115]
	v_mul_f64 v[195:196], v[160:161], s[16:17]
	s_mov_b32 s17, 0x3fed1bb4
	v_fma_f64 v[120:121], v[193:194], s[2:3], v[195:196]
	v_fma_f64 v[126:127], v[193:194], s[2:3], -v[195:196]
	v_add_f64 v[120:121], v[120:121], v[168:169]
	v_add_f64 v[168:169], v[128:129], -v[150:151]
	v_add_f64 v[126:127], v[126:127], v[154:155]
	v_fma_f64 v[128:129], v[191:192], s[18:19], -v[16:17]
	v_fma_f64 v[16:17], v[191:192], s[18:19], v[16:17]
	v_mul_f64 v[150:151], v[225:226], s[22:23]
	v_mul_f64 v[199:200], v[168:169], s[20:21]
	v_mul_f64 v[231:232], v[168:169], s[24:25]
	v_mul_f64 v[233:234], v[168:169], s[22:23]
	v_add_f64 v[128:129], v[128:129], v[170:171]
	v_add_f64 v[16:17], v[16:17], v[178:179]
	v_fma_f64 v[178:179], v[221:222], s[8:9], -v[144:145]
	v_fma_f64 v[144:145], v[221:222], s[8:9], v[144:145]
	v_fma_f64 v[122:123], v[197:198], s[10:11], -v[199:200]
	v_fma_f64 v[154:155], v[197:198], s[10:11], v[199:200]
	v_mul_f64 v[199:200], v[160:161], s[34:35]
	v_fma_f64 v[237:238], v[197:198], s[8:9], -v[231:232]
	v_fma_f64 v[231:232], v[197:198], s[8:9], v[231:232]
	v_fma_f64 v[239:240], v[197:198], s[18:19], -v[233:234]
	v_fma_f64 v[233:234], v[197:198], s[18:19], v[233:234]
	v_add_f64 v[118:119], v[122:123], v[118:119]
	v_fma_f64 v[122:123], v[203:204], s[10:11], v[205:206]
	v_add_f64 v[116:117], v[154:155], v[116:117]
	v_fma_f64 v[154:155], v[203:204], s[10:11], -v[205:206]
	v_mul_f64 v[205:206], v[160:161], s[36:37]
	v_add_f64 v[120:121], v[122:123], v[120:121]
	v_fma_f64 v[122:123], v[209:210], s[18:19], -v[211:212]
	v_add_f64 v[126:127], v[154:155], v[126:127]
	v_fma_f64 v[154:155], v[209:210], s[18:19], v[211:212]
	v_add_f64 v[118:119], v[122:123], v[118:119]
	v_fma_f64 v[122:123], v[215:216], s[18:19], v[217:218]
	v_add_f64 v[116:117], v[154:155], v[116:117]
	v_fma_f64 v[154:155], v[215:216], s[18:19], -v[217:218]
	v_fma_f64 v[217:218], v[193:194], s[26:27], v[199:200]
	v_fma_f64 v[199:200], v[193:194], s[26:27], -v[199:200]
	v_add_f64 v[122:123], v[122:123], v[120:121]
	v_fma_f64 v[120:121], v[221:222], s[26:27], -v[223:224]
	v_add_f64 v[126:127], v[154:155], v[126:127]
	v_fma_f64 v[154:155], v[221:222], s[26:27], v[223:224]
	v_fma_f64 v[223:224], v[193:194], s[10:11], v[205:206]
	v_fma_f64 v[205:206], v[193:194], s[10:11], -v[205:206]
	v_add_f64 v[156:157], v[217:218], v[156:157]
	v_add_f64 v[164:165], v[199:200], v[164:165]
	;; [unrolled: 1-line block ×3, first 2 shown]
	v_mul_f64 v[118:119], v[225:226], s[28:29]
	v_add_f64 v[116:117], v[154:155], v[116:117]
	v_fma_f64 v[154:155], v[191:192], s[26:27], -v[18:19]
	v_fma_f64 v[18:19], v[191:192], s[26:27], v[18:19]
	v_fma_f64 v[229:230], v[227:228], s[26:27], v[118:119]
	v_fma_f64 v[118:119], v[227:228], s[26:27], -v[118:119]
	v_add_f64 v[154:155], v[154:155], v[172:173]
	v_add_f64 v[18:19], v[18:19], v[148:149]
	;; [unrolled: 1-line block ×5, first 2 shown]
	v_mul_f64 v[126:127], v[189:190], s[30:31]
	v_fma_f64 v[189:190], v[191:192], s[10:11], -v[124:125]
	v_fma_f64 v[124:125], v[191:192], s[10:11], v[124:125]
	v_fma_f64 v[195:196], v[191:192], s[8:9], -v[126:127]
	v_fma_f64 v[126:127], v[191:192], s[8:9], v[126:127]
	v_mul_f64 v[191:192], v[160:161], s[22:23]
	v_mul_f64 v[160:161], v[160:161], s[30:31]
	v_add_f64 v[148:149], v[189:190], v[176:177]
	v_add_f64 v[124:125], v[124:125], v[158:159]
	v_mul_f64 v[176:177], v[219:220], s[16:17]
	v_fma_f64 v[189:190], v[227:228], s[18:19], -v[150:151]
	v_add_f64 v[158:159], v[195:196], v[180:181]
	v_add_f64 v[126:127], v[126:127], v[187:188]
	v_fma_f64 v[211:212], v[193:194], s[18:19], v[191:192]
	v_fma_f64 v[191:192], v[193:194], s[18:19], -v[191:192]
	v_fma_f64 v[229:230], v[193:194], s[8:9], v[160:161]
	v_fma_f64 v[160:161], v[193:194], s[8:9], -v[160:161]
	v_mul_f64 v[193:194], v[168:169], s[34:35]
	v_mul_f64 v[168:169], v[168:169], s[16:17]
	v_add_f64 v[148:149], v[237:238], v[148:149]
	v_add_f64 v[124:125], v[231:232], v[124:125]
	v_fma_f64 v[180:181], v[221:222], s[18:19], -v[146:147]
	v_fma_f64 v[146:147], v[221:222], s[18:19], v[146:147]
	v_fma_f64 v[187:188], v[227:228], s[8:9], -v[130:131]
	v_add_f64 v[158:159], v[239:240], v[158:159]
	v_add_f64 v[126:127], v[233:234], v[126:127]
	;; [unrolled: 1-line block ×6, first 2 shown]
	v_fma_f64 v[235:236], v[197:198], s[26:27], -v[193:194]
	v_fma_f64 v[193:194], v[197:198], s[26:27], v[193:194]
	v_fma_f64 v[241:242], v[197:198], s[2:3], -v[168:169]
	v_fma_f64 v[168:169], v[197:198], s[2:3], v[168:169]
	v_mul_f64 v[197:198], v[201:202], s[22:23]
	v_mul_f64 v[201:202], v[201:202], s[16:17]
	v_add_f64 v[160:161], v[205:206], v[166:167]
	v_mul_f64 v[166:167], v[219:220], s[20:21]
	v_fma_f64 v[185:186], v[221:222], s[2:3], -v[176:177]
	v_fma_f64 v[176:177], v[221:222], s[2:3], v[176:177]
	v_add_f64 v[170:171], v[243:244], v[170:171]
	v_add_f64 v[132:133], v[132:133], v[162:163]
	v_mul_f64 v[162:163], v[225:226], s[20:21]
	v_add_f64 v[128:129], v[235:236], v[128:129]
	v_add_f64 v[16:17], v[193:194], v[16:17]
	;; [unrolled: 1-line block ×4, first 2 shown]
	v_fma_f64 v[247:248], v[203:204], s[18:19], v[197:198]
	v_fma_f64 v[197:198], v[203:204], s[18:19], -v[197:198]
	v_fma_f64 v[249:250], v[203:204], s[2:3], v[201:202]
	v_fma_f64 v[201:202], v[203:204], s[2:3], -v[201:202]
	v_mul_f64 v[203:204], v[207:208], s[28:29]
	v_mul_f64 v[207:208], v[207:208], s[16:17]
	v_add_f64 v[168:169], v[245:246], v[172:173]
	v_add_f64 v[134:135], v[134:135], v[160:161]
	v_fma_f64 v[182:183], v[221:222], s[10:11], -v[166:167]
	v_fma_f64 v[166:167], v[221:222], s[10:11], v[166:167]
	v_add_f64 v[28:29], v[28:29], v[170:171]
	v_add_f64 v[30:31], v[30:31], v[132:133]
	v_fma_f64 v[191:192], v[227:228], s[10:11], v[162:163]
	v_fma_f64 v[162:163], v[227:228], s[10:11], -v[162:163]
	v_add_f64 v[128:129], v[251:252], v[128:129]
	v_add_f64 v[16:17], v[136:137], v[16:17]
	;; [unrolled: 1-line block ×8, first 2 shown]
	v_fma_f64 v[24:25], v[209:210], s[26:27], -v[203:204]
	v_fma_f64 v[26:27], v[209:210], s[26:27], v[203:204]
	v_fma_f64 v[203:204], v[209:210], s[2:3], -v[207:208]
	v_fma_f64 v[207:208], v[209:210], s[2:3], v[207:208]
	v_mul_f64 v[209:210], v[213:214], s[28:29]
	v_mul_f64 v[213:214], v[213:214], s[16:17]
	;; [unrolled: 1-line block ×3, first 2 shown]
	v_fma_f64 v[174:175], v[227:228], s[8:9], v[130:131]
	v_fma_f64 v[130:131], v[227:228], s[18:19], v[150:151]
	v_add_f64 v[140:141], v[140:141], v[156:157]
	v_add_f64 v[24:25], v[24:25], v[148:149]
	;; [unrolled: 1-line block ×5, first 2 shown]
	v_fma_f64 v[32:33], v[215:216], s[26:27], v[209:210]
	v_fma_f64 v[34:35], v[215:216], s[26:27], -v[209:210]
	v_fma_f64 v[209:210], v[215:216], s[2:3], v[213:214]
	v_fma_f64 v[213:214], v[215:216], s[2:3], -v[213:214]
	v_fma_f64 v[193:194], v[227:228], s[2:3], v[164:165]
	v_fma_f64 v[164:165], v[227:228], s[2:3], -v[164:165]
	v_add_f64 v[158:159], v[142:143], v[160:161]
	v_add_f64 v[148:149], v[178:179], v[128:129]
	;; [unrolled: 1-line block ×21, first 2 shown]
	ds_write_b128 v255, v[120:123] offset:1904
	ds_write_b128 v255, v[148:151] offset:3808
	;; [unrolled: 1-line block ×10, first 2 shown]
	ds_write_b128 v255, v[112:115]
	s_waitcnt lgkmcnt(0)
	s_waitcnt_vscnt null, 0x0
	s_barrier
	buffer_gl0_inv
	s_and_saveexec_b32 s2, vcc_lo
	s_cbranch_execz .LBB0_13
; %bb.12:
	v_add_co_u32 v164, s1, s12, v255
	v_add_co_ci_u32_e64 v165, null, s13, 0, s1
	v_add_co_u32 v12, s1, 0x5000, v164
	v_add_co_ci_u32_e64 v13, s1, 0, v165, s1
	global_load_dwordx4 v[156:159], v[12:13], off offset:464
	v_add_co_u32 v12, s1, 0x51d0, v164
	v_add_co_ci_u32_e64 v13, s1, 0, v165, s1
	v_add_co_u32 v14, s1, 0x5800, v164
	v_add_co_ci_u32_e64 v15, s1, 0, v165, s1
	global_load_dwordx4 v[160:163], v[12:13], off offset:1232
	v_add_co_u32 v12, s1, 0x6000, v164
	v_add_co_ci_u32_e64 v13, s1, 0, v165, s1
	s_clause 0x1
	global_load_dwordx4 v[166:169], v[14:15], off offset:880
	global_load_dwordx4 v[170:173], v[12:13], off offset:64
	v_add_co_u32 v14, s1, 0x6800, v164
	v_add_co_ci_u32_e64 v15, s1, 0, v165, s1
	s_clause 0x1
	global_load_dwordx4 v[174:177], v[12:13], off offset:1296
	;; [unrolled: 5-line block ×3, first 2 shown]
	global_load_dwordx4 v[189:192], v[12:13], off offset:896
	v_add_co_u32 v12, s1, 0x7800, v164
	v_add_co_ci_u32_e64 v13, s1, 0, v165, s1
	v_add_co_u32 v14, s1, 0x8000, v164
	v_add_co_ci_u32_e64 v15, s1, 0, v165, s1
	s_clause 0x2
	global_load_dwordx4 v[193:196], v[12:13], off offset:80
	global_load_dwordx4 v[197:200], v[12:13], off offset:1312
	;; [unrolled: 1-line block ×3, first 2 shown]
	v_add_co_u32 v12, s1, 0x8800, v164
	v_add_co_ci_u32_e64 v13, s1, 0, v165, s1
	v_add_co_u32 v16, s1, 0x9000, v164
	v_add_co_ci_u32_e64 v17, s1, 0, v165, s1
	s_clause 0x2
	global_load_dwordx4 v[205:208], v[14:15], off offset:1728
	global_load_dwordx4 v[209:212], v[12:13], off offset:912
	;; [unrolled: 1-line block ×3, first 2 shown]
	v_add_co_u32 v12, s1, 0x9800, v164
	v_add_co_ci_u32_e64 v13, s1, 0, v165, s1
	s_clause 0x2
	global_load_dwordx4 v[217:220], v[16:17], off offset:1328
	global_load_dwordx4 v[221:224], v[12:13], off offset:512
	;; [unrolled: 1-line block ×3, first 2 shown]
	ds_read_b128 v[229:232], v255
	ds_read_b128 v[233:236], v255 offset:1232
	ds_read_b128 v[237:240], v255 offset:2464
	;; [unrolled: 1-line block ×6, first 2 shown]
	s_waitcnt vmcnt(16) lgkmcnt(6)
	v_mul_f64 v[16:17], v[231:232], v[158:159]
	v_mul_f64 v[18:19], v[229:230], v[158:159]
	s_waitcnt vmcnt(15) lgkmcnt(5)
	v_mul_f64 v[20:21], v[235:236], v[162:163]
	v_mul_f64 v[22:23], v[233:234], v[162:163]
	ds_read_b128 v[162:165], v255 offset:7392
	s_waitcnt vmcnt(14) lgkmcnt(5)
	v_mul_f64 v[24:25], v[239:240], v[168:169]
	v_mul_f64 v[26:27], v[237:238], v[168:169]
	s_waitcnt vmcnt(13) lgkmcnt(4)
	v_mul_f64 v[28:29], v[243:244], v[172:173]
	v_mul_f64 v[30:31], v[241:242], v[172:173]
	s_waitcnt vmcnt(12) lgkmcnt(3)
	v_mul_f64 v[32:33], v[247:248], v[176:177]
	v_fma_f64 v[229:230], v[229:230], v[156:157], -v[16:17]
	v_fma_f64 v[231:232], v[231:232], v[156:157], v[18:19]
	ds_read_b128 v[156:159], v255 offset:9856
	s_waitcnt vmcnt(11) lgkmcnt(3)
	v_mul_f64 v[34:35], v[251:252], v[180:181]
	v_mul_f64 v[16:17], v[245:246], v[176:177]
	;; [unrolled: 1-line block ×3, first 2 shown]
	v_fma_f64 v[180:181], v[233:234], v[160:161], -v[20:21]
	v_fma_f64 v[182:183], v[235:236], v[160:161], v[22:23]
	ds_read_b128 v[233:236], v255 offset:11088
	s_waitcnt vmcnt(10) lgkmcnt(2)
	v_mul_f64 v[20:21], v[164:165], v[187:188]
	v_mul_f64 v[22:23], v[162:163], v[187:188]
	v_fma_f64 v[237:238], v[237:238], v[166:167], -v[24:25]
	v_fma_f64 v[239:240], v[239:240], v[166:167], v[26:27]
	s_waitcnt vmcnt(9)
	v_mul_f64 v[24:25], v[14:15], v[191:192]
	ds_read_b128 v[166:169], v255 offset:12320
	v_mul_f64 v[26:27], v[12:13], v[191:192]
	v_fma_f64 v[241:242], v[241:242], v[170:171], -v[28:29]
	v_fma_f64 v[243:244], v[243:244], v[170:171], v[30:31]
	ds_read_b128 v[170:173], v255 offset:13552
	s_waitcnt vmcnt(8) lgkmcnt(3)
	v_mul_f64 v[28:29], v[158:159], v[195:196]
	v_mul_f64 v[30:31], v[156:157], v[195:196]
	v_fma_f64 v[245:246], v[245:246], v[174:175], -v[32:33]
	v_fma_f64 v[249:250], v[249:250], v[178:179], -v[34:35]
	v_fma_f64 v[247:248], v[247:248], v[174:175], v[16:17]
	ds_read_b128 v[174:177], v255 offset:14784
	ds_read_b128 v[16:19], v255 offset:16016
	v_fma_f64 v[251:252], v[251:252], v[178:179], v[253:254]
	s_waitcnt vmcnt(7) lgkmcnt(4)
	v_mul_f64 v[32:33], v[235:236], v[199:200]
	v_mul_f64 v[34:35], v[233:234], v[199:200]
	v_fma_f64 v[160:161], v[162:163], v[185:186], -v[20:21]
	v_fma_f64 v[162:163], v[164:165], v[185:186], v[22:23]
	ds_read_b128 v[185:188], v255 offset:17248
	ds_read_b128 v[20:23], v255 offset:18480
	s_waitcnt vmcnt(6) lgkmcnt(5)
	v_mul_f64 v[164:165], v[168:169], v[203:204]
	v_mul_f64 v[178:179], v[166:167], v[203:204]
	v_fma_f64 v[12:13], v[12:13], v[189:190], -v[24:25]
	v_fma_f64 v[14:15], v[14:15], v[189:190], v[26:27]
	ds_read_b128 v[189:192], v255 offset:19712
	s_waitcnt vmcnt(5) lgkmcnt(5)
	v_mul_f64 v[24:25], v[172:173], v[207:208]
	v_mul_f64 v[26:27], v[170:171], v[207:208]
	v_fma_f64 v[156:157], v[156:157], v[193:194], -v[28:29]
	v_fma_f64 v[158:159], v[158:159], v[193:194], v[30:31]
	s_waitcnt vmcnt(4) lgkmcnt(4)
	v_mul_f64 v[28:29], v[176:177], v[211:212]
	v_mul_f64 v[30:31], v[174:175], v[211:212]
	s_waitcnt vmcnt(3) lgkmcnt(3)
	v_mul_f64 v[199:200], v[18:19], v[215:216]
	v_mul_f64 v[203:204], v[16:17], v[215:216]
	v_fma_f64 v[193:194], v[233:234], v[197:198], -v[32:33]
	v_fma_f64 v[195:196], v[235:236], v[197:198], v[34:35]
	s_waitcnt vmcnt(2) lgkmcnt(2)
	v_mul_f64 v[32:33], v[187:188], v[219:220]
	v_mul_f64 v[34:35], v[185:186], v[219:220]
	;; [unrolled: 8-line block ×3, first 2 shown]
	v_fma_f64 v[168:169], v[170:171], v[205:206], -v[24:25]
	v_fma_f64 v[170:171], v[172:173], v[205:206], v[26:27]
	v_fma_f64 v[172:173], v[174:175], v[209:210], -v[28:29]
	v_fma_f64 v[174:175], v[176:177], v[209:210], v[30:31]
	;; [unrolled: 2-line block ×6, first 2 shown]
	ds_write_b128 v255, v[229:232]
	ds_write_b128 v255, v[180:183] offset:1232
	ds_write_b128 v255, v[237:240] offset:2464
	;; [unrolled: 1-line block ×16, first 2 shown]
.LBB0_13:
	s_or_b32 exec_lo, exec_lo, s2
	s_waitcnt lgkmcnt(0)
	s_barrier
	buffer_gl0_inv
	s_and_saveexec_b32 s1, vcc_lo
	s_cbranch_execz .LBB0_15
; %bb.14:
	ds_read_b128 v[112:115], v255
	ds_read_b128 v[120:123], v255 offset:1232
	ds_read_b128 v[148:151], v255 offset:2464
	;; [unrolled: 1-line block ×16, first 2 shown]
	s_waitcnt lgkmcnt(0)
	buffer_store_dword v0, off, s[60:63], 0 offset:12 ; 4-byte Folded Spill
	buffer_store_dword v1, off, s[60:63], 0 offset:16 ; 4-byte Folded Spill
	;; [unrolled: 1-line block ×4, first 2 shown]
.LBB0_15:
	s_or_b32 exec_lo, exec_lo, s1
	s_clause 0x3
	buffer_load_dword v76, off, s[60:63], 0 offset:12
	buffer_load_dword v77, off, s[60:63], 0 offset:16
	;; [unrolled: 1-line block ×4, first 2 shown]
	s_mov_b32 s2, 0xeb564b22
	s_mov_b32 s10, 0x3259b75e
	s_mov_b32 s3, 0xbfefdd0d
	s_mov_b32 s11, 0x3fb79ee6
	v_add_f64 v[185:186], v[150:151], -v[6:7]
	v_add_f64 v[189:190], v[150:151], v[6:7]
	s_mov_b32 s8, 0xacd6c6b4
	s_mov_b32 s16, 0x7faef3
	;; [unrolled: 1-line block ×4, first 2 shown]
	v_add_f64 v[187:188], v[148:149], v[4:5]
	v_add_f64 v[197:198], v[154:155], -v[10:11]
	v_add_f64 v[203:204], v[148:149], -v[4:5]
	v_add_f64 v[201:202], v[154:155], v[10:11]
	s_mov_b32 s20, 0x923c349f
	s_mov_b32 s24, 0xc61f0d01
	;; [unrolled: 1-line block ×6, first 2 shown]
	v_add_f64 v[199:200], v[152:153], v[8:9]
	v_add_f64 v[213:214], v[146:147], -v[102:103]
	v_add_f64 v[219:220], v[152:153], -v[8:9]
	v_add_f64 v[227:228], v[146:147], v[102:103]
	s_mov_b32 s22, 0x5d8e7cdc
	s_mov_b32 s26, 0x370991
	v_mul_f64 v[0:1], v[185:186], s[8:9]
	v_mul_f64 v[38:39], v[189:190], s[16:17]
	s_mov_b32 s23, 0x3fd71e95
	s_mov_b32 s27, 0x3fedd6d0
	v_add_f64 v[211:212], v[144:145], v[100:101]
	v_add_f64 v[233:234], v[144:145], -v[100:101]
	v_add_f64 v[223:224], v[142:143], -v[106:107]
	v_mul_f64 v[36:37], v[197:198], s[18:19]
	s_mov_b32 s30, 0x7c9e640b
	v_mul_f64 v[44:45], v[201:202], s[24:25]
	s_mov_b32 s31, 0x3feca52d
	s_mov_b32 s43, 0xbfeca52d
	;; [unrolled: 1-line block ×3, first 2 shown]
	v_add_f64 v[225:226], v[140:141], v[104:105]
	v_add_f64 v[231:232], v[142:143], v[106:107]
	s_mov_b32 s28, 0x2b2883cd
	s_mov_b32 s29, 0x3fdc86fa
	v_mul_f64 v[42:43], v[213:214], s[22:23]
	v_add_f64 v[235:236], v[140:141], -v[104:105]
	v_mul_f64 v[46:47], v[227:228], s[26:27]
	v_add_f64 v[243:244], v[138:139], -v[110:111]
	s_mov_b32 s36, 0x4363dd80
	v_fma_f64 v[16:17], v[187:188], s[16:17], -v[0:1]
	v_fma_f64 v[18:19], v[203:204], s[8:9], v[38:39]
	s_mov_b32 s37, 0xbfe0d888
	v_add_f64 v[241:242], v[136:137], v[108:109]
	v_add_f64 v[249:250], v[138:139], v[110:111]
	s_mov_b32 s34, 0x910ea3b9
	v_mul_f64 v[52:53], v[223:224], s[42:43]
	v_fma_f64 v[20:21], v[199:200], s[24:25], -v[36:37]
	s_mov_b32 s35, 0xbfeb34fa
	v_add_f64 v[253:254], v[136:137], -v[108:109]
	v_add_f64 v[245:246], v[134:135], -v[118:119]
	s_mov_b32 s40, 0x6c9a05f6
	s_mov_b32 s41, 0xbfe9895b
	;; [unrolled: 1-line block ×3, first 2 shown]
	v_mul_f64 v[54:55], v[231:232], s[28:29]
	s_mov_b32 s52, s40
	v_add_f64 v[237:238], v[132:133], v[116:117]
	s_mov_b32 s38, 0x6ed5f1bb
	s_mov_b32 s39, 0xbfe348c8
	v_add_f64 v[251:252], v[134:135], v[118:119]
	v_mul_f64 v[56:57], v[243:244], s[36:37]
	v_add_f64 v[209:210], v[132:133], -v[116:117]
	v_add_f64 v[247:248], v[130:131], -v[126:127]
	s_mov_b32 s48, 0x2a9d6da3
	s_mov_b32 s49, 0x3fe58eea
	v_add_f64 v[229:230], v[128:129], v[124:125]
	v_mul_f64 v[64:65], v[249:250], s[34:35]
	s_mov_b32 s46, 0x75d4884
	s_mov_b32 s47, 0x3fe7a5f6
	v_add_f64 v[239:240], v[130:131], v[126:127]
	v_add_f64 v[205:206], v[128:129], -v[124:125]
	s_mov_b32 s45, 0x3fe0d888
	v_mul_f64 v[62:63], v[245:246], s[52:53]
	s_mov_b32 s44, s36
	s_mov_b32 s57, 0x3fefdd0d
	;; [unrolled: 1-line block ×7, first 2 shown]
	v_mul_f64 v[22:23], v[189:190], s[28:29]
	v_mul_f64 v[172:173], v[243:244], s[8:9]
	;; [unrolled: 1-line block ×3, first 2 shown]
	s_mov_b32 s59, 0x3fc7851a
	v_mul_f64 v[70:71], v[247:248], s[48:49]
	s_mov_b32 s58, s8
	v_mul_f64 v[176:177], v[245:246], s[48:49]
	v_mul_f64 v[178:179], v[251:252], s[46:47]
	;; [unrolled: 1-line block ×7, first 2 shown]
	v_fma_f64 v[24:25], v[203:204], s[42:43], v[22:23]
	s_waitcnt vmcnt(0)
	v_add_f64 v[193:194], v[122:123], -v[78:79]
	v_add_f64 v[195:196], v[122:123], v[78:79]
	v_add_f64 v[191:192], v[120:121], v[76:77]
	v_add_f64 v[207:208], v[120:121], -v[76:77]
	v_mul_f64 v[2:3], v[193:194], s[2:3]
	v_mul_f64 v[40:41], v[195:196], s[10:11]
	v_fma_f64 v[12:13], v[191:192], s[10:11], -v[2:3]
	v_fma_f64 v[14:15], v[207:208], s[2:3], v[40:41]
	v_add_f64 v[12:13], v[112:113], v[12:13]
	v_add_f64 v[14:15], v[114:115], v[14:15]
	;; [unrolled: 1-line block ×4, first 2 shown]
	v_fma_f64 v[16:17], v[219:220], s[18:19], v[44:45]
	v_fma_f64 v[18:19], v[211:212], s[26:27], -v[42:43]
	v_add_f64 v[12:13], v[20:21], v[12:13]
	v_add_f64 v[14:15], v[16:17], v[14:15]
	v_fma_f64 v[16:17], v[233:234], s[22:23], v[46:47]
	v_add_f64 v[12:13], v[18:19], v[12:13]
	v_add_f64 v[14:15], v[16:17], v[14:15]
	v_fma_f64 v[16:17], v[225:226], s[28:29], -v[52:53]
	v_add_f64 v[12:13], v[16:17], v[12:13]
	v_fma_f64 v[16:17], v[235:236], s[42:43], v[54:55]
	v_add_f64 v[14:15], v[16:17], v[14:15]
	v_fma_f64 v[16:17], v[241:242], s[34:35], -v[56:57]
	v_add_f64 v[12:13], v[16:17], v[12:13]
	v_fma_f64 v[16:17], v[253:254], s[36:37], v[64:65]
	v_add_f64 v[14:15], v[16:17], v[14:15]
	v_fma_f64 v[16:17], v[237:238], s[38:39], -v[62:63]
	v_add_f64 v[12:13], v[16:17], v[12:13]
	v_mul_f64 v[16:17], v[251:252], s[38:39]
	buffer_store_dword v16, off, s[60:63], 0 offset:272 ; 4-byte Folded Spill
	buffer_store_dword v17, off, s[60:63], 0 offset:276 ; 4-byte Folded Spill
	v_fma_f64 v[16:17], v[209:210], s[52:53], v[16:17]
	v_add_f64 v[14:15], v[16:17], v[14:15]
	v_fma_f64 v[16:17], v[229:230], s[46:47], -v[70:71]
	v_add_f64 v[156:157], v[16:17], v[12:13]
	v_mul_f64 v[12:13], v[239:240], s[46:47]
	v_mul_f64 v[16:17], v[189:190], s[34:35]
	buffer_store_dword v12, off, s[60:63], 0 offset:288 ; 4-byte Folded Spill
	buffer_store_dword v13, off, s[60:63], 0 offset:292 ; 4-byte Folded Spill
	v_fma_f64 v[12:13], v[205:206], s[48:49], v[12:13]
	v_add_f64 v[158:159], v[12:13], v[14:15]
	v_mul_f64 v[12:13], v[193:194], s[20:21]
	v_mul_f64 v[14:15], v[185:186], s[44:45]
	buffer_store_dword v12, off, s[60:63], 0 offset:464 ; 4-byte Folded Spill
	buffer_store_dword v13, off, s[60:63], 0 offset:468 ; 4-byte Folded Spill
	;; [unrolled: 1-line block ×4, first 2 shown]
	v_fma_f64 v[12:13], v[191:192], s[24:25], -v[12:13]
	v_fma_f64 v[14:15], v[187:188], s[34:35], -v[14:15]
	v_add_f64 v[12:13], v[112:113], v[12:13]
	v_add_f64 v[12:13], v[14:15], v[12:13]
	v_mul_f64 v[14:15], v[195:196], s[24:25]
	buffer_store_dword v14, off, s[60:63], 0 offset:488 ; 4-byte Folded Spill
	buffer_store_dword v15, off, s[60:63], 0 offset:492 ; 4-byte Folded Spill
	;; [unrolled: 1-line block ×4, first 2 shown]
	v_fma_f64 v[14:15], v[207:208], s[20:21], v[14:15]
	v_fma_f64 v[16:17], v[203:204], s[44:45], v[16:17]
	v_add_f64 v[14:15], v[114:115], v[14:15]
	v_add_f64 v[14:15], v[16:17], v[14:15]
	v_mul_f64 v[16:17], v[197:198], s[48:49]
	buffer_store_dword v16, off, s[60:63], 0 offset:304 ; 4-byte Folded Spill
	buffer_store_dword v17, off, s[60:63], 0 offset:308 ; 4-byte Folded Spill
	v_fma_f64 v[16:17], v[199:200], s[46:47], -v[16:17]
	v_add_f64 v[12:13], v[16:17], v[12:13]
	v_mul_f64 v[16:17], v[201:202], s[46:47]
	buffer_store_dword v16, off, s[60:63], 0 offset:344 ; 4-byte Folded Spill
	buffer_store_dword v17, off, s[60:63], 0 offset:348 ; 4-byte Folded Spill
	v_fma_f64 v[16:17], v[219:220], s[48:49], v[16:17]
	v_add_f64 v[14:15], v[16:17], v[14:15]
	v_mul_f64 v[16:17], v[213:214], s[42:43]
	buffer_store_dword v16, off, s[60:63], 0 offset:336 ; 4-byte Folded Spill
	buffer_store_dword v17, off, s[60:63], 0 offset:340 ; 4-byte Folded Spill
	v_fma_f64 v[16:17], v[211:212], s[28:29], -v[16:17]
	v_add_f64 v[12:13], v[16:17], v[12:13]
	v_mul_f64 v[16:17], v[227:228], s[28:29]
	buffer_store_dword v16, off, s[60:63], 0 offset:368 ; 4-byte Folded Spill
	buffer_store_dword v17, off, s[60:63], 0 offset:372 ; 4-byte Folded Spill
	v_fma_f64 v[16:17], v[233:234], s[42:43], v[16:17]
	;; [unrolled: 10-line block ×5, first 2 shown]
	v_add_f64 v[14:15], v[16:17], v[14:15]
	v_mul_f64 v[16:17], v[247:248], s[40:41]
	buffer_store_dword v16, off, s[60:63], 0 offset:312 ; 4-byte Folded Spill
	buffer_store_dword v17, off, s[60:63], 0 offset:316 ; 4-byte Folded Spill
	v_fma_f64 v[16:17], v[229:230], s[38:39], -v[16:17]
	v_add_f64 v[164:165], v[16:17], v[12:13]
	v_mul_f64 v[12:13], v[239:240], s[38:39]
	buffer_store_dword v12, off, s[60:63], 0 offset:360 ; 4-byte Folded Spill
	buffer_store_dword v13, off, s[60:63], 0 offset:364 ; 4-byte Folded Spill
	v_mul_f64 v[16:17], v[189:190], s[24:25]
	v_fma_f64 v[12:13], v[205:206], s[40:41], v[12:13]
	v_add_f64 v[166:167], v[12:13], v[14:15]
	v_mul_f64 v[12:13], v[193:194], s[40:41]
	buffer_store_dword v12, off, s[60:63], 0 offset:536 ; 4-byte Folded Spill
	buffer_store_dword v13, off, s[60:63], 0 offset:540 ; 4-byte Folded Spill
	v_mul_f64 v[14:15], v[185:186], s[18:19]
	buffer_store_dword v14, off, s[60:63], 0 offset:424 ; 4-byte Folded Spill
	buffer_store_dword v15, off, s[60:63], 0 offset:428 ; 4-byte Folded Spill
	v_fma_f64 v[12:13], v[191:192], s[38:39], -v[12:13]
	v_add_f64 v[12:13], v[112:113], v[12:13]
	v_fma_f64 v[14:15], v[187:188], s[24:25], -v[14:15]
	v_add_f64 v[12:13], v[14:15], v[12:13]
	v_mul_f64 v[14:15], v[195:196], s[38:39]
	buffer_store_dword v14, off, s[60:63], 0 offset:544 ; 4-byte Folded Spill
	buffer_store_dword v15, off, s[60:63], 0 offset:548 ; 4-byte Folded Spill
	;; [unrolled: 1-line block ×4, first 2 shown]
	v_fma_f64 v[14:15], v[207:208], s[40:41], v[14:15]
	v_fma_f64 v[16:17], v[203:204], s[18:19], v[16:17]
	v_add_f64 v[14:15], v[114:115], v[14:15]
	v_add_f64 v[14:15], v[16:17], v[14:15]
	v_mul_f64 v[16:17], v[197:198], s[50:51]
	buffer_store_dword v16, off, s[60:63], 0 offset:432 ; 4-byte Folded Spill
	buffer_store_dword v17, off, s[60:63], 0 offset:436 ; 4-byte Folded Spill
	v_fma_f64 v[16:17], v[199:200], s[26:27], -v[16:17]
	v_add_f64 v[12:13], v[16:17], v[12:13]
	v_mul_f64 v[16:17], v[201:202], s[26:27]
	buffer_store_dword v16, off, s[60:63], 0 offset:456 ; 4-byte Folded Spill
	buffer_store_dword v17, off, s[60:63], 0 offset:460 ; 4-byte Folded Spill
	v_fma_f64 v[16:17], v[219:220], s[50:51], v[16:17]
	v_add_f64 v[14:15], v[16:17], v[14:15]
	v_mul_f64 v[16:17], v[213:214], s[36:37]
	buffer_store_dword v16, off, s[60:63], 0 offset:448 ; 4-byte Folded Spill
	buffer_store_dword v17, off, s[60:63], 0 offset:452 ; 4-byte Folded Spill
	v_fma_f64 v[16:17], v[211:212], s[34:35], -v[16:17]
	v_add_f64 v[12:13], v[16:17], v[12:13]
	v_mul_f64 v[16:17], v[227:228], s[34:35]
	buffer_store_dword v16, off, s[60:63], 0 offset:480 ; 4-byte Folded Spill
	buffer_store_dword v17, off, s[60:63], 0 offset:484 ; 4-byte Folded Spill
	v_fma_f64 v[16:17], v[233:234], s[36:37], v[16:17]
	;; [unrolled: 10-line block ×5, first 2 shown]
	v_add_f64 v[14:15], v[16:17], v[14:15]
	v_mul_f64 v[16:17], v[247:248], s[30:31]
	buffer_store_dword v16, off, s[60:63], 0 offset:408 ; 4-byte Folded Spill
	buffer_store_dword v17, off, s[60:63], 0 offset:412 ; 4-byte Folded Spill
	v_fma_f64 v[16:17], v[229:230], s[28:29], -v[16:17]
	v_add_f64 v[168:169], v[16:17], v[12:13]
	v_mul_f64 v[12:13], v[239:240], s[28:29]
	buffer_store_dword v12, off, s[60:63], 0 offset:528 ; 4-byte Folded Spill
	buffer_store_dword v13, off, s[60:63], 0 offset:532 ; 4-byte Folded Spill
	v_mul_f64 v[16:17], v[185:186], s[30:31]
	s_waitcnt_vscnt null, 0x0
	s_barrier
	buffer_gl0_inv
	v_fma_f64 v[18:19], v[187:188], s[28:29], v[16:17]
	v_fma_f64 v[16:17], v[187:188], s[28:29], -v[16:17]
	v_fma_f64 v[12:13], v[205:206], s[30:31], v[12:13]
	v_add_f64 v[170:171], v[12:13], v[14:15]
	v_mul_f64 v[12:13], v[193:194], s[36:37]
	v_fma_f64 v[14:15], v[191:192], s[34:35], v[12:13]
	v_fma_f64 v[12:13], v[191:192], s[34:35], -v[12:13]
	v_add_f64 v[14:15], v[112:113], v[14:15]
	v_add_f64 v[12:13], v[112:113], v[12:13]
	;; [unrolled: 1-line block ×3, first 2 shown]
	v_mul_f64 v[18:19], v[195:196], s[34:35]
	v_add_f64 v[12:13], v[16:17], v[12:13]
	v_fma_f64 v[20:21], v[207:208], s[44:45], v[18:19]
	v_fma_f64 v[16:17], v[207:208], s[36:37], v[18:19]
	;; [unrolled: 1-line block ×3, first 2 shown]
	v_mul_f64 v[22:23], v[189:190], s[26:27]
	v_add_f64 v[20:21], v[114:115], v[20:21]
	v_add_f64 v[16:17], v[114:115], v[16:17]
	v_add_f64 v[20:21], v[24:25], v[20:21]
	v_mul_f64 v[24:25], v[197:198], s[2:3]
	v_add_f64 v[16:17], v[18:19], v[16:17]
	v_fma_f64 v[26:27], v[199:200], s[10:11], v[24:25]
	v_fma_f64 v[18:19], v[199:200], s[10:11], -v[24:25]
	v_fma_f64 v[24:25], v[203:204], s[50:51], v[22:23]
	v_add_f64 v[14:15], v[26:27], v[14:15]
	v_mul_f64 v[26:27], v[201:202], s[10:11]
	v_add_f64 v[12:13], v[18:19], v[12:13]
	v_fma_f64 v[28:29], v[219:220], s[56:57], v[26:27]
	v_fma_f64 v[18:19], v[219:220], s[2:3], v[26:27]
	v_add_f64 v[20:21], v[28:29], v[20:21]
	v_mul_f64 v[28:29], v[213:214], s[52:53]
	v_add_f64 v[16:17], v[18:19], v[16:17]
	v_fma_f64 v[30:31], v[211:212], s[38:39], v[28:29]
	v_fma_f64 v[18:19], v[211:212], s[38:39], -v[28:29]
	v_add_f64 v[14:15], v[30:31], v[14:15]
	v_mul_f64 v[30:31], v[227:228], s[38:39]
	v_add_f64 v[12:13], v[18:19], v[12:13]
	v_fma_f64 v[32:33], v[233:234], s[40:41], v[30:31]
	v_fma_f64 v[18:19], v[233:234], s[52:53], v[30:31]
	v_add_f64 v[20:21], v[32:33], v[20:21]
	v_mul_f64 v[32:33], v[223:224], s[50:51]
	v_add_f64 v[16:17], v[18:19], v[16:17]
	v_fma_f64 v[34:35], v[225:226], s[26:27], v[32:33]
	v_fma_f64 v[18:19], v[225:226], s[26:27], -v[32:33]
	v_add_f64 v[14:15], v[34:35], v[14:15]
	v_mul_f64 v[34:35], v[231:232], s[26:27]
	v_add_f64 v[12:13], v[18:19], v[12:13]
	v_fma_f64 v[160:161], v[235:236], s[22:23], v[34:35]
	v_fma_f64 v[18:19], v[235:236], s[50:51], v[34:35]
	v_add_f64 v[20:21], v[160:161], v[20:21]
	v_fma_f64 v[160:161], v[241:242], s[16:17], v[172:173]
	v_add_f64 v[16:17], v[18:19], v[16:17]
	v_fma_f64 v[18:19], v[241:242], s[16:17], -v[172:173]
	v_add_f64 v[14:15], v[160:161], v[14:15]
	v_fma_f64 v[160:161], v[253:254], s[58:59], v[174:175]
	v_add_f64 v[12:13], v[18:19], v[12:13]
	v_fma_f64 v[18:19], v[253:254], s[8:9], v[174:175]
	;; [unrolled: 2-line block ×3, first 2 shown]
	v_add_f64 v[16:17], v[18:19], v[16:17]
	v_fma_f64 v[18:19], v[237:238], s[46:47], -v[176:177]
	v_add_f64 v[14:15], v[160:161], v[14:15]
	v_fma_f64 v[160:161], v[209:210], s[54:55], v[178:179]
	v_add_f64 v[12:13], v[18:19], v[12:13]
	v_fma_f64 v[18:19], v[209:210], s[48:49], v[178:179]
	;; [unrolled: 2-line block ×3, first 2 shown]
	v_add_f64 v[16:17], v[18:19], v[16:17]
	v_fma_f64 v[18:19], v[229:230], s[24:25], -v[180:181]
	v_mul_f64 v[180:181], v[243:244], s[30:31]
	v_add_f64 v[58:59], v[160:161], v[14:15]
	v_mul_f64 v[14:15], v[239:240], s[24:25]
	v_add_f64 v[172:173], v[18:19], v[12:13]
	v_mul_f64 v[12:13], v[193:194], s[8:9]
	v_fma_f64 v[162:163], v[205:206], s[18:19], v[14:15]
	v_fma_f64 v[14:15], v[205:206], s[20:21], v[14:15]
	v_add_f64 v[60:61], v[162:163], v[20:21]
	v_add_f64 v[174:175], v[14:15], v[16:17]
	v_fma_f64 v[14:15], v[191:192], s[16:17], v[12:13]
	v_mul_f64 v[16:17], v[185:186], s[22:23]
	v_fma_f64 v[12:13], v[191:192], s[16:17], -v[12:13]
	v_add_f64 v[14:15], v[112:113], v[14:15]
	v_fma_f64 v[18:19], v[187:188], s[26:27], v[16:17]
	v_add_f64 v[12:13], v[112:113], v[12:13]
	v_fma_f64 v[16:17], v[187:188], s[26:27], -v[16:17]
	v_add_f64 v[14:15], v[18:19], v[14:15]
	v_mul_f64 v[18:19], v[195:196], s[16:17]
	v_add_f64 v[12:13], v[16:17], v[12:13]
	v_fma_f64 v[20:21], v[207:208], s[58:59], v[18:19]
	v_fma_f64 v[16:17], v[207:208], s[8:9], v[18:19]
	;; [unrolled: 1-line block ×3, first 2 shown]
	v_add_f64 v[20:21], v[114:115], v[20:21]
	v_add_f64 v[16:17], v[114:115], v[16:17]
	;; [unrolled: 1-line block ×3, first 2 shown]
	v_mul_f64 v[24:25], v[197:198], s[36:37]
	v_add_f64 v[16:17], v[18:19], v[16:17]
	v_fma_f64 v[26:27], v[199:200], s[34:35], v[24:25]
	v_fma_f64 v[18:19], v[199:200], s[34:35], -v[24:25]
	v_add_f64 v[14:15], v[26:27], v[14:15]
	v_mul_f64 v[26:27], v[201:202], s[34:35]
	v_add_f64 v[12:13], v[18:19], v[12:13]
	v_fma_f64 v[28:29], v[219:220], s[44:45], v[26:27]
	v_fma_f64 v[18:19], v[219:220], s[36:37], v[26:27]
	v_add_f64 v[20:21], v[28:29], v[20:21]
	v_mul_f64 v[28:29], v[213:214], s[48:49]
	v_add_f64 v[16:17], v[18:19], v[16:17]
	v_fma_f64 v[30:31], v[211:212], s[46:47], v[28:29]
	v_fma_f64 v[18:19], v[211:212], s[46:47], -v[28:29]
	v_add_f64 v[14:15], v[30:31], v[14:15]
	v_mul_f64 v[30:31], v[227:228], s[46:47]
	v_add_f64 v[12:13], v[18:19], v[12:13]
	v_fma_f64 v[32:33], v[233:234], s[54:55], v[30:31]
	v_fma_f64 v[18:19], v[233:234], s[48:49], v[30:31]
	v_add_f64 v[20:21], v[32:33], v[20:21]
	;; [unrolled: 10-line block ×3, first 2 shown]
	v_fma_f64 v[176:177], v[241:242], s[28:29], v[180:181]
	v_add_f64 v[16:17], v[18:19], v[16:17]
	v_fma_f64 v[18:19], v[241:242], s[28:29], -v[180:181]
	v_add_f64 v[14:15], v[176:177], v[14:15]
	v_fma_f64 v[176:177], v[253:254], s[42:43], v[182:183]
	v_add_f64 v[12:13], v[18:19], v[12:13]
	v_fma_f64 v[18:19], v[253:254], s[30:31], v[182:183]
	;; [unrolled: 2-line block ×3, first 2 shown]
	v_add_f64 v[16:17], v[18:19], v[16:17]
	v_fma_f64 v[18:19], v[237:238], s[24:25], -v[217:218]
	v_add_f64 v[14:15], v[176:177], v[14:15]
	v_fma_f64 v[176:177], v[209:210], s[18:19], v[221:222]
	v_add_f64 v[12:13], v[18:19], v[12:13]
	v_fma_f64 v[18:19], v[209:210], s[20:21], v[221:222]
	;; [unrolled: 2-line block ×3, first 2 shown]
	v_add_f64 v[16:17], v[18:19], v[16:17]
	v_fma_f64 v[18:19], v[229:230], s[10:11], -v[215:216]
	v_add_f64 v[176:177], v[176:177], v[14:15]
	v_mul_f64 v[14:15], v[239:240], s[10:11]
	v_add_f64 v[180:181], v[18:19], v[12:13]
	v_fma_f64 v[178:179], v[205:206], s[2:3], v[14:15]
	v_fma_f64 v[14:15], v[205:206], s[56:57], v[14:15]
	v_add_f64 v[178:179], v[178:179], v[20:21]
	v_add_f64 v[182:183], v[14:15], v[16:17]
	s_and_saveexec_b32 s1, vcc_lo
	s_cbranch_execz .LBB0_17
; %bb.16:
	v_add_f64 v[12:13], v[114:115], v[122:123]
	v_add_f64 v[14:15], v[112:113], v[120:121]
	v_mul_f64 v[22:23], v[191:192], s[10:11]
	v_mul_f64 v[24:25], v[207:208], s[42:43]
	;; [unrolled: 1-line block ×9, first 2 shown]
	v_mov_b32_e32 v163, v69
	v_mov_b32_e32 v162, v68
	;; [unrolled: 1-line block ×4, first 2 shown]
	v_add_f64 v[12:13], v[12:13], v[150:151]
	v_add_f64 v[14:15], v[14:15], v[148:149]
	;; [unrolled: 1-line block ×3, first 2 shown]
	v_fma_f64 v[30:31], v[195:196], s[28:29], v[24:25]
	v_fma_f64 v[24:25], v[195:196], s[28:29], -v[24:25]
	v_fma_f64 v[32:33], v[195:196], s[46:47], -v[26:27]
	v_fma_f64 v[26:27], v[195:196], s[46:47], v[26:27]
	v_fma_f64 v[34:35], v[195:196], s[26:27], -v[28:29]
	v_fma_f64 v[28:29], v[195:196], s[26:27], v[28:29]
	v_mul_f64 v[148:149], v[187:188], s[34:35]
	v_mul_f64 v[150:151], v[211:212], s[28:29]
	v_add_f64 v[215:216], v[215:216], v[36:37]
	v_mul_f64 v[36:37], v[229:230], s[28:29]
	v_add_f64 v[221:222], v[221:222], v[42:43]
	v_mul_f64 v[42:43], v[205:206], s[48:49]
	v_mul_f64 v[195:196], v[233:234], s[22:23]
	v_add_f64 v[217:218], v[54:55], -v[217:218]
	v_add_f64 v[12:13], v[12:13], v[154:155]
	v_add_f64 v[14:15], v[14:15], v[152:153]
	;; [unrolled: 1-line block ×9, first 2 shown]
	v_mul_f64 v[152:153], v[199:200], s[46:47]
	v_mul_f64 v[154:155], v[253:254], s[36:37]
	v_add_f64 v[195:196], v[46:47], -v[195:196]
	v_mul_f64 v[46:47], v[237:238], s[38:39]
	v_add_f64 v[12:13], v[12:13], v[146:147]
	v_add_f64 v[14:15], v[14:15], v[144:145]
	v_mul_f64 v[144:145], v[241:242], s[10:11]
	v_mul_f64 v[146:147], v[225:226], s[16:17]
	v_add_f64 v[154:155], v[64:65], -v[154:155]
	v_add_f64 v[46:47], v[46:47], v[62:63]
	v_add_f64 v[12:13], v[12:13], v[142:143]
	;; [unrolled: 1-line block ×3, first 2 shown]
	v_mul_f64 v[140:141], v[219:220], s[48:49]
	v_mul_f64 v[142:143], v[203:204], s[44:45]
	v_add_f64 v[12:13], v[12:13], v[138:139]
	v_add_f64 v[14:15], v[14:15], v[136:137]
	v_mul_f64 v[136:137], v[235:236], s[8:9]
	v_mul_f64 v[138:139], v[233:234], s[42:43]
	v_add_f64 v[12:13], v[12:13], v[134:135]
	v_add_f64 v[14:15], v[14:15], v[132:133]
	;; [unrolled: 4-line block ×6, first 2 shown]
	v_add_f64 v[12:13], v[12:13], v[106:107]
	v_add_f64 v[14:15], v[14:15], v[104:105]
	v_mul_f64 v[104:105], v[193:194], s[50:51]
	v_add_f64 v[12:13], v[12:13], v[102:103]
	v_add_f64 v[14:15], v[14:15], v[100:101]
	v_mul_f64 v[100:101], v[193:194], s[42:43]
	v_mul_f64 v[102:103], v[193:194], s[54:55]
	v_fma_f64 v[110:111], v[191:192], s[26:27], v[104:105]
	v_fma_f64 v[104:105], v[191:192], s[26:27], -v[104:105]
	v_mul_f64 v[193:194], v[219:220], s[18:19]
	v_add_f64 v[10:11], v[12:13], v[10:11]
	v_add_f64 v[8:9], v[14:15], v[8:9]
	s_clause 0x7
	buffer_load_dword v14, off, s[60:63], 0 offset:544
	buffer_load_dword v15, off, s[60:63], 0 offset:548
	;; [unrolled: 1-line block ×8, first 2 shown]
	v_mul_f64 v[12:13], v[207:208], s[40:41]
	v_fma_f64 v[106:107], v[191:192], s[28:29], -v[100:101]
	v_fma_f64 v[100:101], v[191:192], s[28:29], v[100:101]
	v_fma_f64 v[108:109], v[191:192], s[46:47], v[102:103]
	v_fma_f64 v[102:103], v[191:192], s[46:47], -v[102:103]
	v_add_f64 v[110:111], v[112:113], v[110:111]
	v_add_f64 v[104:105], v[112:113], v[104:105]
	v_add_f64 v[193:194], v[44:45], -v[193:194]
	v_mul_f64 v[44:45], v[229:230], s[46:47]
	v_add_f64 v[2:3], v[10:11], v[6:7]
	v_mul_f64 v[6:7], v[237:238], s[16:17]
	v_mul_f64 v[10:11], v[205:206], s[40:41]
	buffer_store_dword v2, off, s[60:63], 0 offset:464 ; 4-byte Folded Spill
	buffer_store_dword v3, off, s[60:63], 0 offset:468 ; 4-byte Folded Spill
	v_add_f64 v[2:3], v[8:9], v[4:5]
	v_mul_f64 v[4:5], v[205:206], s[30:31]
	v_mul_f64 v[8:9], v[209:210], s[8:9]
	v_add_f64 v[106:107], v[112:113], v[106:107]
	v_add_f64 v[100:101], v[112:113], v[100:101]
	;; [unrolled: 1-line block ×4, first 2 shown]
	buffer_store_dword v2, off, s[60:63], 0 offset:488 ; 4-byte Folded Spill
	buffer_store_dword v3, off, s[60:63], 0 offset:492 ; 4-byte Folded Spill
	s_clause 0x1
	buffer_load_dword v2, off, s[60:63], 0 offset:528
	buffer_load_dword v3, off, s[60:63], 0 offset:532
	s_waitcnt vmcnt(8)
	v_add_f64 v[12:13], v[14:15], -v[12:13]
	v_mul_f64 v[14:15], v[191:192], s[38:39]
	v_add_f64 v[12:13], v[114:115], v[12:13]
	s_waitcnt vmcnt(6)
	v_add_f64 v[14:15], v[14:15], v[16:17]
	v_mul_f64 v[16:17], v[207:208], s[20:21]
	v_add_f64 v[14:15], v[112:113], v[14:15]
	s_waitcnt vmcnt(4)
	v_add_f64 v[16:17], v[18:19], -v[16:17]
	v_mul_f64 v[18:19], v[191:192], s[24:25]
	v_mul_f64 v[191:192], v[203:204], s[8:9]
	s_waitcnt vmcnt(0)
	v_add_f64 v[2:3], v[2:3], -v[4:5]
	v_mul_f64 v[4:5], v[209:210], s[52:53]
	v_add_f64 v[16:17], v[114:115], v[16:17]
	v_add_f64 v[18:19], v[18:19], v[20:21]
	v_mul_f64 v[20:21], v[207:208], s[2:3]
	v_mul_f64 v[207:208], v[187:188], s[16:17]
	v_add_f64 v[191:192], v[38:39], -v[191:192]
	v_mul_f64 v[38:39], v[229:230], s[38:39]
	buffer_store_dword v2, off, s[60:63], 0 offset:528 ; 4-byte Folded Spill
	buffer_store_dword v3, off, s[60:63], 0 offset:532 ; 4-byte Folded Spill
	s_clause 0x1
	buffer_load_dword v2, off, s[60:63], 0 offset:520
	buffer_load_dword v3, off, s[60:63], 0 offset:524
	v_add_f64 v[18:19], v[112:113], v[18:19]
	v_mul_f64 v[112:113], v[253:254], s[54:55]
	v_add_f64 v[20:21], v[40:41], -v[20:21]
	v_add_f64 v[207:208], v[207:208], v[0:1]
	v_mul_f64 v[40:41], v[241:242], s[34:35]
	v_add_f64 v[20:21], v[114:115], v[20:21]
	v_mul_f64 v[114:115], v[235:236], s[56:57]
	v_add_f64 v[40:41], v[40:41], v[56:57]
	v_add_f64 v[22:23], v[207:208], v[22:23]
	;; [unrolled: 1-line block ×9, first 2 shown]
	s_waitcnt vmcnt(0)
	v_add_f64 v[8:9], v[2:3], -v[8:9]
	s_clause 0x1
	buffer_load_dword v2, off, s[60:63], 0 offset:512
	buffer_load_dword v3, off, s[60:63], 0 offset:516
	s_waitcnt vmcnt(0)
	v_add_f64 v[112:113], v[2:3], -v[112:113]
	s_clause 0x1
	buffer_load_dword v2, off, s[60:63], 0 offset:504
	buffer_load_dword v3, off, s[60:63], 0 offset:508
	s_waitcnt vmcnt(0)
	v_add_f64 v[114:115], v[2:3], -v[114:115]
	s_clause 0x1
	buffer_load_dword v2, off, s[60:63], 0 offset:480
	buffer_load_dword v3, off, s[60:63], 0 offset:484
	s_waitcnt vmcnt(0)
	v_add_f64 v[116:117], v[2:3], -v[116:117]
	s_clause 0x1
	buffer_load_dword v2, off, s[60:63], 0 offset:456
	buffer_load_dword v3, off, s[60:63], 0 offset:460
	s_waitcnt vmcnt(0)
	v_add_f64 v[118:119], v[2:3], -v[118:119]
	s_clause 0x1
	buffer_load_dword v2, off, s[60:63], 0 offset:440
	buffer_load_dword v3, off, s[60:63], 0 offset:444
	s_waitcnt vmcnt(0)
	v_add_f64 v[120:121], v[2:3], -v[120:121]
	s_clause 0x1
	buffer_load_dword v2, off, s[60:63], 0 offset:496
	buffer_load_dword v3, off, s[60:63], 0 offset:500
	v_add_f64 v[12:13], v[120:121], v[12:13]
	v_mul_f64 v[120:121], v[197:198], s[58:59]
	v_add_f64 v[12:13], v[118:119], v[12:13]
	v_add_f64 v[12:13], v[116:117], v[12:13]
	;; [unrolled: 1-line block ×5, first 2 shown]
	s_waitcnt vmcnt(0)
	v_add_f64 v[122:123], v[122:123], v[2:3]
	s_clause 0x1
	buffer_load_dword v2, off, s[60:63], 0 offset:472
	buffer_load_dword v3, off, s[60:63], 0 offset:476
	s_waitcnt vmcnt(0)
	v_add_f64 v[124:125], v[124:125], v[2:3]
	s_clause 0x1
	buffer_load_dword v2, off, s[60:63], 0 offset:448
	buffer_load_dword v3, off, s[60:63], 0 offset:452
	;; [unrolled: 5-line block ×5, first 2 shown]
	v_add_f64 v[14:15], v[130:131], v[14:15]
	v_mul_f64 v[130:131], v[197:198], s[40:41]
	v_add_f64 v[14:15], v[128:129], v[14:15]
	v_fma_f64 v[191:192], v[199:200], s[38:39], v[130:131]
	v_fma_f64 v[130:131], v[199:200], s[38:39], -v[130:131]
	v_add_f64 v[14:15], v[126:127], v[14:15]
	v_add_f64 v[14:15], v[124:125], v[14:15]
	;; [unrolled: 1-line block ×3, first 2 shown]
	s_waitcnt vmcnt(0)
	v_add_f64 v[132:133], v[2:3], -v[132:133]
	s_clause 0x1
	buffer_load_dword v2, off, s[60:63], 0 offset:392
	buffer_load_dword v3, off, s[60:63], 0 offset:396
	s_waitcnt vmcnt(0)
	v_add_f64 v[134:135], v[2:3], -v[134:135]
	s_clause 0x1
	buffer_load_dword v2, off, s[60:63], 0 offset:384
	buffer_load_dword v3, off, s[60:63], 0 offset:388
	;; [unrolled: 5-line block ×6, first 2 shown]
	v_add_f64 v[16:17], v[142:143], v[16:17]
	v_mul_f64 v[142:143], v[197:198], s[42:43]
	v_add_f64 v[16:17], v[140:141], v[16:17]
	v_fma_f64 v[197:198], v[199:200], s[28:29], v[142:143]
	v_fma_f64 v[142:143], v[199:200], s[28:29], -v[142:143]
	v_add_f64 v[16:17], v[138:139], v[16:17]
	v_add_f64 v[16:17], v[136:137], v[16:17]
	;; [unrolled: 1-line block ×4, first 2 shown]
	s_waitcnt vmcnt(0)
	v_add_f64 v[144:145], v[144:145], v[2:3]
	s_clause 0x1
	buffer_load_dword v2, off, s[60:63], 0 offset:352
	buffer_load_dword v3, off, s[60:63], 0 offset:356
	s_waitcnt vmcnt(0)
	v_add_f64 v[146:147], v[146:147], v[2:3]
	s_clause 0x1
	buffer_load_dword v2, off, s[60:63], 0 offset:296
	buffer_load_dword v3, off, s[60:63], 0 offset:300
	;; [unrolled: 5-line block ×3, first 2 shown]
	v_add_f64 v[18:19], v[148:149], v[18:19]
	v_fma_f64 v[148:149], v[199:200], s[16:17], -v[120:121]
	v_fma_f64 v[120:121], v[199:200], s[16:17], v[120:121]
	s_waitcnt vmcnt(0)
	v_add_f64 v[150:151], v[150:151], v[2:3]
	s_clause 0x3
	buffer_load_dword v2, off, s[60:63], 0 offset:304
	buffer_load_dword v3, off, s[60:63], 0 offset:308
	;; [unrolled: 1-line block ×4, first 2 shown]
	s_waitcnt vmcnt(2)
	v_add_f64 v[152:153], v[152:153], v[2:3]
	s_waitcnt vmcnt(0)
	v_add_f64 v[6:7], v[6:7], v[0:1]
	s_clause 0x1
	buffer_load_dword v0, off, s[60:63], 0 offset:360
	buffer_load_dword v1, off, s[60:63], 0 offset:364
	v_add_f64 v[18:19], v[152:153], v[18:19]
	v_add_f64 v[18:19], v[150:151], v[18:19]
	;; [unrolled: 1-line block ×4, first 2 shown]
	s_waitcnt vmcnt(0)
	v_add_f64 v[0:1], v[0:1], -v[10:11]
	buffer_store_dword v0, off, s[60:63], 0 offset:328 ; 4-byte Folded Spill
	buffer_store_dword v1, off, s[60:63], 0 offset:332 ; 4-byte Folded Spill
	s_clause 0x3
	buffer_load_dword v2, off, s[60:63], 0 offset:320
	buffer_load_dword v3, off, s[60:63], 0 offset:324
	;; [unrolled: 1-line block ×4, first 2 shown]
	v_mul_f64 v[0:1], v[237:238], s[26:27]
	s_waitcnt vmcnt(2)
	v_add_f64 v[0:1], v[0:1], v[2:3]
	s_waitcnt vmcnt(0)
	v_add_f64 v[4:5], v[10:11], -v[4:5]
	s_clause 0x1
	buffer_load_dword v10, off, s[60:63], 0 offset:408
	buffer_load_dword v11, off, s[60:63], 0 offset:412
	v_mul_f64 v[2:3], v[225:226], s[28:29]
	v_add_f64 v[0:1], v[0:1], v[18:19]
	v_add_f64 v[2:3], v[2:3], v[52:53]
	;; [unrolled: 1-line block ×3, first 2 shown]
	v_mul_f64 v[22:23], v[235:236], s[48:49]
	v_add_f64 v[2:3], v[40:41], v[2:3]
	v_mul_f64 v[40:41], v[253:254], s[50:51]
	v_add_f64 v[2:3], v[46:47], v[2:3]
	s_waitcnt vmcnt(0)
	v_add_f64 v[10:11], v[36:37], v[10:11]
	buffer_store_dword v10, off, s[60:63], 0 offset:296 ; 4-byte Folded Spill
	buffer_store_dword v11, off, s[60:63], 0 offset:300 ; 4-byte Folded Spill
	s_clause 0x1
	buffer_load_dword v10, off, s[60:63], 0 offset:312
	buffer_load_dword v11, off, s[60:63], 0 offset:316
	v_add_f64 v[36:37], v[44:45], v[70:71]
	s_waitcnt vmcnt(0)
	v_add_f64 v[10:11], v[38:39], v[10:11]
	buffer_store_dword v10, off, s[60:63], 0 offset:304 ; 4-byte Folded Spill
	buffer_store_dword v11, off, s[60:63], 0 offset:308 ; 4-byte Folded Spill
	s_clause 0x1
	buffer_load_dword v10, off, s[60:63], 0 offset:288
	buffer_load_dword v11, off, s[60:63], 0 offset:292
	buffer_store_dword v36, off, s[60:63], 0 offset:288 ; 4-byte Folded Spill
	buffer_store_dword v37, off, s[60:63], 0 offset:292 ; 4-byte Folded Spill
	;; [unrolled: 1-line block ×6, first 2 shown]
	v_mov_b32_e32 v36, v96
	v_mov_b32_e32 v37, v97
	;; [unrolled: 1-line block ×20, first 2 shown]
	s_waitcnt vmcnt(0)
	v_add_f64 v[10:11], v[10:11], -v[42:43]
	v_mov_b32_e32 v42, v80
	v_mov_b32_e32 v43, v81
	;; [unrolled: 1-line block ×8, first 2 shown]
	v_mul_f64 v[48:49], v[203:204], s[40:41]
	v_mul_f64 v[50:51], v[203:204], s[2:3]
	;; [unrolled: 1-line block ×3, first 2 shown]
	v_fma_f64 v[52:53], v[189:190], s[38:39], v[48:49]
	v_fma_f64 v[48:49], v[189:190], s[38:39], -v[48:49]
	v_fma_f64 v[54:55], v[189:190], s[10:11], -v[50:51]
	v_fma_f64 v[50:51], v[189:190], s[10:11], v[50:51]
	v_fma_f64 v[56:57], v[189:190], s[46:47], -v[203:204]
	v_fma_f64 v[58:59], v[189:190], s[46:47], v[203:204]
	v_mul_f64 v[189:190], v[185:186], s[40:41]
	v_mul_f64 v[203:204], v[185:186], s[2:3]
	v_mul_f64 v[185:186], v[185:186], s[54:55]
	v_add_f64 v[30:31], v[52:53], v[30:31]
	v_add_f64 v[24:25], v[48:49], v[24:25]
	;; [unrolled: 1-line block ×6, first 2 shown]
	v_fma_f64 v[60:61], v[187:188], s[38:39], -v[189:190]
	v_fma_f64 v[62:63], v[187:188], s[38:39], v[189:190]
	v_fma_f64 v[64:65], v[187:188], s[46:47], v[185:186]
	v_fma_f64 v[66:67], v[187:188], s[46:47], -v[185:186]
	v_mul_f64 v[185:186], v[219:220], s[58:59]
	v_fma_f64 v[189:190], v[187:188], s[10:11], v[203:204]
	v_fma_f64 v[203:204], v[187:188], s[10:11], -v[203:204]
	v_mul_f64 v[187:188], v[219:220], s[40:41]
	v_mul_f64 v[219:220], v[219:220], s[42:43]
	v_add_f64 v[52:53], v[60:61], v[106:107]
	v_mul_f64 v[60:61], v[233:234], s[18:19]
	v_add_f64 v[48:49], v[62:63], v[100:101]
	v_add_f64 v[58:59], v[66:67], v[104:105]
	v_fma_f64 v[68:69], v[201:202], s[16:17], v[185:186]
	v_fma_f64 v[70:71], v[201:202], s[16:17], -v[185:186]
	v_mul_f64 v[66:67], v[213:214], s[18:19]
	v_fma_f64 v[185:186], v[201:202], s[38:39], -v[187:188]
	v_fma_f64 v[72:73], v[201:202], s[28:29], -v[219:220]
	v_fma_f64 v[187:188], v[201:202], s[38:39], v[187:188]
	v_mul_f64 v[62:63], v[233:234], s[8:9]
	v_add_f64 v[50:51], v[203:204], v[102:103]
	v_fma_f64 v[74:75], v[201:202], s[28:29], v[219:220]
	v_add_f64 v[54:55], v[64:65], v[110:111]
	v_mul_f64 v[64:65], v[233:234], s[2:3]
	v_add_f64 v[56:57], v[189:190], v[108:109]
	v_add_f64 v[52:53], v[148:149], v[52:53]
	v_fma_f64 v[100:101], v[227:228], s[24:25], v[60:61]
	v_fma_f64 v[60:61], v[227:228], s[24:25], -v[60:61]
	v_add_f64 v[48:49], v[120:121], v[48:49]
	v_add_f64 v[30:31], v[68:69], v[30:31]
	;; [unrolled: 1-line block ×3, first 2 shown]
	v_mul_f64 v[70:71], v[213:214], s[2:3]
	v_add_f64 v[32:33], v[185:186], v[32:33]
	v_add_f64 v[34:35], v[72:73], v[34:35]
	v_fma_f64 v[72:73], v[211:212], s[24:25], -v[66:67]
	v_fma_f64 v[66:67], v[211:212], s[24:25], v[66:67]
	v_fma_f64 v[102:103], v[227:228], s[16:17], -v[62:63]
	v_fma_f64 v[62:63], v[227:228], s[16:17], v[62:63]
	v_add_f64 v[26:27], v[187:188], v[26:27]
	v_fma_f64 v[106:107], v[227:228], s[10:11], -v[64:65]
	v_fma_f64 v[64:65], v[227:228], s[10:11], v[64:65]
	v_add_f64 v[28:29], v[74:75], v[28:29]
	v_add_f64 v[54:55], v[197:198], v[54:55]
	v_mul_f64 v[68:69], v[213:214], s[8:9]
	v_add_f64 v[56:57], v[191:192], v[56:57]
	v_add_f64 v[50:51], v[130:131], v[50:51]
	;; [unrolled: 1-line block ×3, first 2 shown]
	v_mul_f64 v[74:75], v[205:206], s[8:9]
	v_add_f64 v[30:31], v[100:101], v[30:31]
	v_add_f64 v[24:25], v[60:61], v[24:25]
	v_fma_f64 v[60:61], v[231:232], s[46:47], v[22:23]
	v_fma_f64 v[22:23], v[231:232], s[46:47], -v[22:23]
	v_fma_f64 v[108:109], v[211:212], s[10:11], v[70:71]
	v_add_f64 v[52:53], v[72:73], v[52:53]
	v_add_f64 v[48:49], v[66:67], v[48:49]
	;; [unrolled: 1-line block ×3, first 2 shown]
	v_fma_f64 v[70:71], v[211:212], s[10:11], -v[70:71]
	v_add_f64 v[26:27], v[62:63], v[26:27]
	v_add_f64 v[34:35], v[106:107], v[34:35]
	v_mul_f64 v[66:67], v[209:210], s[2:3]
	v_add_f64 v[18:19], v[64:65], v[28:29]
	v_mul_f64 v[28:29], v[223:224], s[20:21]
	v_fma_f64 v[104:105], v[211:212], s[16:17], v[68:69]
	v_fma_f64 v[68:69], v[211:212], s[16:17], -v[68:69]
	v_mul_f64 v[102:103], v[247:248], s[36:37]
	v_mul_f64 v[72:73], v[205:206], s[22:23]
	;; [unrolled: 1-line block ×3, first 2 shown]
	v_add_f64 v[30:31], v[60:61], v[30:31]
	v_mul_f64 v[60:61], v[223:224], s[48:49]
	v_add_f64 v[22:23], v[22:23], v[24:25]
	v_add_f64 v[54:55], v[108:109], v[54:55]
	;; [unrolled: 1-line block ×3, first 2 shown]
	v_mul_f64 v[70:71], v[245:246], s[30:31]
	v_add_f64 v[56:57], v[104:105], v[56:57]
	v_add_f64 v[50:51], v[68:69], v[50:51]
	v_mul_f64 v[68:69], v[209:210], s[36:37]
	v_fma_f64 v[108:109], v[229:230], s[34:35], v[102:103]
	v_fma_f64 v[46:47], v[229:230], s[26:27], v[100:101]
	v_fma_f64 v[112:113], v[229:230], s[26:27], -v[100:101]
	v_fma_f64 v[24:25], v[225:226], s[46:47], v[60:61]
	v_fma_f64 v[62:63], v[225:226], s[46:47], -v[60:61]
	v_add_f64 v[24:25], v[24:25], v[48:49]
	v_mul_f64 v[48:49], v[235:236], s[44:45]
	v_add_f64 v[52:53], v[62:63], v[52:53]
	v_fma_f64 v[60:61], v[231:232], s[34:35], -v[48:49]
	v_add_f64 v[32:33], v[60:61], v[32:33]
	v_fma_f64 v[60:61], v[249:250], s[26:27], v[40:41]
	v_fma_f64 v[40:41], v[249:250], s[26:27], -v[40:41]
	v_add_f64 v[30:31], v[60:61], v[30:31]
	v_mul_f64 v[60:61], v[243:244], s[50:51]
	v_add_f64 v[22:23], v[40:41], v[22:23]
	v_add_f64 v[40:41], v[6:7], v[14:15]
	;; [unrolled: 1-line block ×3, first 2 shown]
	v_mul_f64 v[4:5], v[235:236], s[20:21]
	v_mul_f64 v[20:21], v[223:224], s[44:45]
	v_fma_f64 v[14:15], v[231:232], s[34:35], v[48:49]
	v_fma_f64 v[62:63], v[241:242], s[26:27], -v[60:61]
	v_fma_f64 v[16:17], v[231:232], s[24:25], -v[4:5]
	v_fma_f64 v[4:5], v[231:232], s[24:25], v[4:5]
	v_fma_f64 v[48:49], v[225:226], s[34:35], v[20:21]
	v_add_f64 v[14:15], v[14:15], v[26:27]
	v_fma_f64 v[20:21], v[225:226], s[34:35], -v[20:21]
	v_add_f64 v[52:53], v[62:63], v[52:53]
	v_fma_f64 v[62:63], v[225:226], s[24:25], v[28:29]
	v_fma_f64 v[28:29], v[225:226], s[24:25], -v[28:29]
	v_add_f64 v[16:17], v[16:17], v[34:35]
	v_add_f64 v[4:5], v[4:5], v[18:19]
	;; [unrolled: 1-line block ×3, first 2 shown]
	v_mul_f64 v[56:57], v[253:254], s[40:41]
	v_fma_f64 v[18:19], v[241:242], s[26:27], v[60:61]
	v_add_f64 v[20:21], v[20:21], v[50:51]
	v_mul_f64 v[50:51], v[243:244], s[18:19]
	v_add_f64 v[34:35], v[62:63], v[54:55]
	v_mul_f64 v[54:55], v[253:254], s[18:19]
	v_mul_f64 v[62:63], v[243:244], s[40:41]
	v_add_f64 v[28:29], v[28:29], v[58:59]
	v_mul_f64 v[58:59], v[209:210], s[30:31]
	v_add_f64 v[18:19], v[18:19], v[24:25]
	v_mul_f64 v[24:25], v[245:246], s[36:37]
	v_fma_f64 v[60:61], v[241:242], s[24:25], v[50:51]
	v_fma_f64 v[50:51], v[241:242], s[24:25], -v[50:51]
	v_fma_f64 v[26:27], v[249:250], s[24:25], -v[54:55]
	v_fma_f64 v[64:65], v[241:242], s[38:39], v[62:63]
	v_fma_f64 v[62:63], v[241:242], s[38:39], -v[62:63]
	v_add_f64 v[48:49], v[60:61], v[48:49]
	v_mul_f64 v[60:61], v[245:246], s[2:3]
	v_add_f64 v[20:21], v[50:51], v[20:21]
	v_fma_f64 v[50:51], v[251:252], s[34:35], -v[68:69]
	v_add_f64 v[26:27], v[26:27], v[32:33]
	v_fma_f64 v[32:33], v[249:250], s[24:25], v[54:55]
	v_fma_f64 v[54:55], v[249:250], s[38:39], -v[56:57]
	v_fma_f64 v[56:57], v[249:250], s[38:39], v[56:57]
	v_add_f64 v[34:35], v[64:65], v[34:35]
	v_fma_f64 v[64:65], v[251:252], s[28:29], -v[58:59]
	v_add_f64 v[28:29], v[62:63], v[28:29]
	v_mul_f64 v[62:63], v[247:248], s[8:9]
	v_add_f64 v[14:15], v[32:33], v[14:15]
	v_add_f64 v[16:17], v[54:55], v[16:17]
	;; [unrolled: 1-line block ×3, first 2 shown]
	v_fma_f64 v[4:5], v[237:238], s[34:35], v[24:25]
	v_fma_f64 v[54:55], v[251:252], s[10:11], -v[66:67]
	v_add_f64 v[26:27], v[64:65], v[26:27]
	v_fma_f64 v[64:65], v[237:238], s[10:11], -v[60:61]
	v_fma_f64 v[60:61], v[237:238], s[10:11], v[60:61]
	v_fma_f64 v[24:25], v[237:238], s[34:35], -v[24:25]
	v_fma_f64 v[32:33], v[251:252], s[10:11], v[66:67]
	v_fma_f64 v[66:67], v[237:238], s[28:29], v[70:71]
	v_add_f64 v[50:51], v[50:51], v[16:17]
	v_add_f64 v[34:35], v[4:5], v[34:35]
	s_clause 0x1
	buffer_load_dword v4, off, s[60:63], 0 offset:528
	buffer_load_dword v5, off, s[60:63], 0 offset:532
	v_add_f64 v[22:23], v[54:55], v[22:23]
	v_fma_f64 v[54:55], v[251:252], s[28:29], v[58:59]
	v_fma_f64 v[58:59], v[251:252], s[34:35], v[68:69]
	v_add_f64 v[60:61], v[60:61], v[18:19]
	v_add_f64 v[24:25], v[24:25], v[28:29]
	v_fma_f64 v[68:69], v[237:238], s[28:29], -v[70:71]
	v_mul_f64 v[70:71], v[205:206], s[36:37]
	v_add_f64 v[48:49], v[66:67], v[48:49]
	v_fma_f64 v[66:67], v[239:240], s[16:17], -v[74:75]
	v_add_f64 v[30:31], v[32:33], v[30:31]
	v_fma_f64 v[32:33], v[229:230], s[16:17], v[62:63]
	v_fma_f64 v[18:19], v[239:240], s[26:27], -v[72:73]
	v_fma_f64 v[72:73], v[239:240], s[26:27], v[72:73]
	v_fma_f64 v[74:75], v[239:240], s[16:17], v[74:75]
	v_add_f64 v[52:53], v[64:65], v[52:53]
	v_add_f64 v[54:55], v[54:55], v[14:15]
	;; [unrolled: 1-line block ×3, first 2 shown]
	v_fma_f64 v[58:59], v[229:230], s[16:17], -v[62:63]
	v_add_f64 v[14:15], v[108:109], v[60:61]
	v_add_f64 v[64:65], v[68:69], v[20:21]
	v_fma_f64 v[16:17], v[239:240], s[34:35], -v[70:71]
	v_fma_f64 v[68:69], v[239:240], s[34:35], v[70:71]
	v_fma_f64 v[70:71], v[229:230], s[34:35], -v[102:103]
	v_add_f64 v[102:103], v[66:67], v[50:51]
	v_add_f64 v[100:101], v[32:33], v[34:35]
	;; [unrolled: 1-line block ×4, first 2 shown]
	v_mov_b32_e32 v48, v80
	v_mov_b32_e32 v49, v81
	;; [unrolled: 1-line block ×8, first 2 shown]
	v_add_f64 v[114:115], v[72:73], v[54:55]
	v_add_f64 v[118:119], v[74:75], v[56:57]
	;; [unrolled: 1-line block ×3, first 2 shown]
	v_mov_b32_e32 v72, v84
	v_mov_b32_e32 v73, v85
	v_add_f64 v[16:17], v[16:17], v[22:23]
	v_mov_b32_e32 v74, v86
	v_mov_b32_e32 v75, v87
	v_mov_b32_e32 v84, v88
	v_add_f64 v[110:111], v[68:69], v[30:31]
	v_add_f64 v[108:109], v[70:71], v[52:53]
	v_mov_b32_e32 v85, v89
	v_mov_b32_e32 v86, v90
	;; [unrolled: 1-line block ×4, first 2 shown]
	v_add_f64 v[112:113], v[112:113], v[64:65]
	v_mov_b32_e32 v89, v93
	v_mov_b32_e32 v90, v94
	;; [unrolled: 1-line block ×15, first 2 shown]
	s_waitcnt vmcnt(0)
	v_add_f64 v[4:5], v[4:5], v[8:9]
	s_clause 0x1
	buffer_load_dword v8, off, s[60:63], 0 offset:328
	buffer_load_dword v9, off, s[60:63], 0 offset:332
	s_waitcnt vmcnt(0)
	v_add_f64 v[8:9], v[8:9], v[12:13]
	v_add_f64 v[12:13], v[10:11], v[6:7]
	s_clause 0x1
	buffer_load_dword v6, off, s[60:63], 0 offset:464
	buffer_load_dword v7, off, s[60:63], 0 offset:468
	s_waitcnt vmcnt(0)
	v_add_f64 v[106:107], v[6:7], v[78:79]
	s_clause 0x1
	buffer_load_dword v6, off, s[60:63], 0 offset:488
	buffer_load_dword v7, off, s[60:63], 0 offset:492
	s_waitcnt vmcnt(0)
	;; [unrolled: 5-line block ×5, first 2 shown]
	v_add_f64 v[2:3], v[0:1], v[40:41]
	s_clause 0x4
	buffer_load_dword v58, off, s[60:63], 0 offset:272
	buffer_load_dword v59, off, s[60:63], 0 offset:276
	;; [unrolled: 1-line block ×5, first 2 shown]
	v_mov_b32_e32 v0, 4
	s_waitcnt vmcnt(0)
	v_lshlrev_b32_sdwa v0, v0, v1 dst_sel:DWORD dst_unused:UNUSED_PAD src0_sel:DWORD src1_sel:WORD_0
	ds_write_b128 v0, v[104:107]
	ds_write_b128 v0, v[100:103] offset:16
	ds_write_b128 v0, v[18:21] offset:32
	;; [unrolled: 1-line block ×16, first 2 shown]
.LBB0_17:
	s_or_b32 exec_lo, exec_lo, s1
	s_waitcnt lgkmcnt(0)
	s_waitcnt_vscnt null, 0x0
	s_barrier
	buffer_gl0_inv
	ds_read_b128 v[0:3], v255
	ds_read_b128 v[108:111], v255 offset:2992
	ds_read_b128 v[104:107], v255 offset:5984
	;; [unrolled: 1-line block ×6, first 2 shown]
	s_and_saveexec_b32 s1, s0
	s_cbranch_execz .LBB0_19
; %bb.18:
	ds_read_b128 v[58:61], v255 offset:1904
	ds_read_b128 v[176:179], v255 offset:4896
	;; [unrolled: 1-line block ×7, first 2 shown]
.LBB0_19:
	s_or_b32 exec_lo, exec_lo, s1
	s_clause 0xb
	buffer_load_dword v44, off, s[60:63], 0 offset:128
	buffer_load_dword v45, off, s[60:63], 0 offset:132
	buffer_load_dword v46, off, s[60:63], 0 offset:136
	buffer_load_dword v47, off, s[60:63], 0 offset:140
	buffer_load_dword v40, off, s[60:63], 0 offset:112
	buffer_load_dword v41, off, s[60:63], 0 offset:116
	buffer_load_dword v42, off, s[60:63], 0 offset:120
	buffer_load_dword v43, off, s[60:63], 0 offset:124
	buffer_load_dword v52, off, s[60:63], 0 offset:144
	buffer_load_dword v53, off, s[60:63], 0 offset:148
	buffer_load_dword v54, off, s[60:63], 0 offset:152
	buffer_load_dword v55, off, s[60:63], 0 offset:156
	s_waitcnt lgkmcnt(3)
	v_mul_f64 v[28:29], v[82:83], v[10:11]
	v_mul_f64 v[30:31], v[82:83], v[8:9]
	s_mov_b32 s10, 0x37e14327
	s_mov_b32 s18, 0xe976ee23
	;; [unrolled: 1-line block ×20, first 2 shown]
	v_fma_f64 v[8:9], v[80:81], v[8:9], v[28:29]
	v_fma_f64 v[10:11], v[80:81], v[10:11], -v[30:31]
	s_waitcnt vmcnt(8)
	v_mul_f64 v[12:13], v[46:47], v[110:111]
	v_mul_f64 v[14:15], v[46:47], v[108:109]
	s_waitcnt vmcnt(0) lgkmcnt(0)
	v_mul_f64 v[20:21], v[54:55], v[114:115]
	v_mul_f64 v[22:23], v[54:55], v[112:113]
	s_clause 0x7
	buffer_load_dword v54, off, s[60:63], 0 offset:160
	buffer_load_dword v55, off, s[60:63], 0 offset:164
	;; [unrolled: 1-line block ×8, first 2 shown]
	v_mul_f64 v[16:17], v[42:43], v[106:107]
	v_mul_f64 v[18:19], v[42:43], v[104:105]
	s_waitcnt vmcnt(0)
	s_barrier
	buffer_gl0_inv
	v_fma_f64 v[12:13], v[44:45], v[108:109], v[12:13]
	v_fma_f64 v[14:15], v[44:45], v[110:111], -v[14:15]
	v_fma_f64 v[20:21], v[52:53], v[112:113], v[20:21]
	v_fma_f64 v[22:23], v[52:53], v[114:115], -v[22:23]
	;; [unrolled: 2-line block ×3, first 2 shown]
	v_add_f64 v[28:29], v[12:13], v[20:21]
	v_add_f64 v[30:31], v[14:15], v[22:23]
	v_mul_f64 v[24:25], v[56:57], v[102:103]
	v_mul_f64 v[26:27], v[56:57], v[100:101]
	;; [unrolled: 1-line block ×4, first 2 shown]
	v_fma_f64 v[24:25], v[54:55], v[100:101], v[24:25]
	v_fma_f64 v[26:27], v[54:55], v[102:103], -v[26:27]
	v_fma_f64 v[4:5], v[36:37], v[4:5], v[32:33]
	v_fma_f64 v[6:7], v[36:37], v[6:7], -v[34:35]
	v_add_f64 v[32:33], v[16:17], v[24:25]
	v_add_f64 v[34:35], v[18:19], v[26:27]
	v_add_f64 v[16:17], v[16:17], -v[24:25]
	v_add_f64 v[18:19], v[18:19], -v[26:27]
	v_add_f64 v[24:25], v[8:9], v[4:5]
	v_add_f64 v[26:27], v[10:11], v[6:7]
	v_add_f64 v[4:5], v[4:5], -v[8:9]
	v_add_f64 v[6:7], v[6:7], -v[10:11]
	;; [unrolled: 1-line block ×4, first 2 shown]
	v_add_f64 v[12:13], v[32:33], v[28:29]
	v_add_f64 v[14:15], v[34:35], v[30:31]
	v_add_f64 v[20:21], v[28:29], -v[24:25]
	v_add_f64 v[22:23], v[30:31], -v[26:27]
	;; [unrolled: 1-line block ×6, first 2 shown]
	v_add_f64 v[16:17], v[4:5], v[16:17]
	v_add_f64 v[18:19], v[6:7], v[18:19]
	v_add_f64 v[4:5], v[8:9], -v[4:5]
	v_add_f64 v[6:7], v[10:11], -v[6:7]
	;; [unrolled: 1-line block ×4, first 2 shown]
	v_add_f64 v[12:13], v[24:25], v[12:13]
	v_add_f64 v[14:15], v[26:27], v[14:15]
	v_add_f64 v[24:25], v[24:25], -v[32:33]
	v_add_f64 v[26:27], v[26:27], -v[34:35]
	v_mul_f64 v[20:21], v[20:21], s[10:11]
	v_mul_f64 v[22:23], v[22:23], s[10:11]
	v_mul_f64 v[36:37], v[36:37], s[18:19]
	v_mul_f64 v[38:39], v[38:39], s[18:19]
	v_mul_f64 v[44:45], v[40:41], s[2:3]
	v_mul_f64 v[46:47], v[42:43], s[2:3]
	v_add_f64 v[8:9], v[16:17], v[8:9]
	v_add_f64 v[10:11], v[18:19], v[10:11]
	;; [unrolled: 1-line block ×4, first 2 shown]
	v_mul_f64 v[32:33], v[24:25], s[8:9]
	v_mul_f64 v[34:35], v[26:27], s[8:9]
	v_fma_f64 v[16:17], v[24:25], s[8:9], v[20:21]
	v_fma_f64 v[18:19], v[26:27], s[8:9], v[22:23]
	;; [unrolled: 1-line block ×4, first 2 shown]
	v_fma_f64 v[36:37], v[40:41], s[2:3], -v[36:37]
	v_fma_f64 v[38:39], v[42:43], s[2:3], -v[38:39]
	;; [unrolled: 1-line block ×6, first 2 shown]
	v_fma_f64 v[12:13], v[12:13], s[16:17], v[0:1]
	v_fma_f64 v[14:15], v[14:15], s[16:17], v[2:3]
	v_fma_f64 v[28:29], v[28:29], s[20:21], -v[32:33]
	v_fma_f64 v[30:31], v[30:31], s[20:21], -v[34:35]
	v_fma_f64 v[24:25], v[8:9], s[28:29], v[24:25]
	v_fma_f64 v[26:27], v[10:11], s[28:29], v[26:27]
	;; [unrolled: 1-line block ×6, first 2 shown]
	v_add_f64 v[40:41], v[16:17], v[12:13]
	v_add_f64 v[42:43], v[18:19], v[14:15]
	;; [unrolled: 1-line block ×7, first 2 shown]
	v_add_f64 v[6:7], v[42:43], -v[24:25]
	v_add_f64 v[8:9], v[38:39], v[20:21]
	v_add_f64 v[10:11], v[22:23], -v[36:37]
	v_add_f64 v[12:13], v[16:17], -v[34:35]
	v_add_f64 v[14:15], v[32:33], v[18:19]
	v_add_f64 v[16:17], v[34:35], v[16:17]
	v_add_f64 v[18:19], v[18:19], -v[32:33]
	v_add_f64 v[20:21], v[20:21], -v[38:39]
	v_add_f64 v[22:23], v[36:37], v[22:23]
	v_add_f64 v[76:77], v[40:41], -v[26:27]
	v_add_f64 v[78:79], v[24:25], v[42:43]
	ds_write_b128 v184, v[0:3]
	ds_write_b128 v184, v[4:7] offset:272
	ds_write_b128 v184, v[8:11] offset:544
	;; [unrolled: 1-line block ×6, first 2 shown]
	s_and_saveexec_b32 s1, s0
	s_cbranch_execz .LBB0_21
; %bb.20:
	s_clause 0xf
	buffer_load_dword v38, off, s[60:63], 0 offset:240
	buffer_load_dword v39, off, s[60:63], 0 offset:244
	;; [unrolled: 1-line block ×16, first 2 shown]
	s_waitcnt vmcnt(12)
	v_mul_f64 v[0:1], v[40:41], v[156:157]
	s_waitcnt vmcnt(8)
	v_mul_f64 v[2:3], v[34:35], v[176:177]
	v_mul_f64 v[8:9], v[34:35], v[178:179]
	s_clause 0x7
	buffer_load_dword v34, off, s[60:63], 0 offset:224
	buffer_load_dword v35, off, s[60:63], 0 offset:228
	;; [unrolled: 1-line block ×8, first 2 shown]
	s_waitcnt vmcnt(12)
	v_mul_f64 v[4:5], v[44:45], v[164:165]
	s_waitcnt vmcnt(8)
	v_mul_f64 v[6:7], v[30:31], v[180:181]
	v_mul_f64 v[10:11], v[40:41], v[158:159]
	v_mul_f64 v[12:13], v[30:31], v[182:183]
	v_mul_f64 v[14:15], v[44:45], v[166:167]
	v_fma_f64 v[0:1], v[38:39], v[158:159], -v[0:1]
	v_fma_f64 v[2:3], v[32:33], v[178:179], -v[2:3]
	v_fma_f64 v[8:9], v[32:33], v[176:177], v[8:9]
	v_fma_f64 v[4:5], v[42:43], v[166:167], -v[4:5]
	v_fma_f64 v[6:7], v[28:29], v[182:183], -v[6:7]
	v_fma_f64 v[10:11], v[38:39], v[156:157], v[10:11]
	v_fma_f64 v[12:13], v[28:29], v[180:181], v[12:13]
	;; [unrolled: 1-line block ×3, first 2 shown]
	v_add_f64 v[28:29], v[8:9], v[10:11]
	v_add_f64 v[8:9], v[8:9], -v[10:11]
	v_add_f64 v[30:31], v[12:13], v[14:15]
	v_add_f64 v[12:13], v[12:13], -v[14:15]
	s_waitcnt vmcnt(4)
	v_mul_f64 v[16:17], v[36:37], v[170:171]
	s_waitcnt vmcnt(0)
	v_mul_f64 v[18:19], v[26:27], v[174:175]
	v_mul_f64 v[20:21], v[26:27], v[172:173]
	;; [unrolled: 1-line block ×3, first 2 shown]
	v_add_f64 v[26:27], v[6:7], v[4:5]
	v_add_f64 v[4:5], v[6:7], -v[4:5]
	v_add_f64 v[6:7], v[2:3], -v[0:1]
	v_fma_f64 v[16:17], v[34:35], v[168:169], v[16:17]
	v_fma_f64 v[18:19], v[24:25], v[172:173], v[18:19]
	v_fma_f64 v[20:21], v[24:25], v[174:175], -v[20:21]
	v_fma_f64 v[22:23], v[34:35], v[170:171], -v[22:23]
	v_add_f64 v[24:25], v[2:3], v[0:1]
	v_add_f64 v[0:1], v[30:31], v[28:29]
	v_add_f64 v[34:35], v[12:13], -v[8:9]
	v_add_f64 v[38:39], v[4:5], -v[6:7]
	;; [unrolled: 1-line block ×3, first 2 shown]
	v_add_f64 v[16:17], v[18:19], v[16:17]
	v_add_f64 v[14:15], v[20:21], v[22:23]
	;; [unrolled: 1-line block ×3, first 2 shown]
	v_add_f64 v[18:19], v[22:23], -v[20:21]
	v_mul_f64 v[44:45], v[34:35], s[2:3]
	v_mul_f64 v[46:47], v[38:39], s[2:3]
	v_add_f64 v[2:3], v[32:33], -v[12:13]
	v_add_f64 v[22:23], v[28:29], -v[16:17]
	v_add_f64 v[20:21], v[24:25], -v[14:15]
	v_add_f64 v[10:11], v[14:15], v[10:11]
	v_add_f64 v[14:15], v[14:15], -v[26:27]
	v_add_f64 v[36:37], v[18:19], -v[4:5]
	v_add_f64 v[40:41], v[16:17], v[0:1]
	v_add_f64 v[16:17], v[16:17], -v[30:31]
	v_add_f64 v[42:43], v[8:9], -v[32:33]
	v_add_f64 v[12:13], v[32:33], v[12:13]
	v_add_f64 v[4:5], v[18:19], v[4:5]
	v_add_f64 v[18:19], v[6:7], -v[18:19]
	v_add_f64 v[24:25], v[26:27], -v[24:25]
	;; [unrolled: 1-line block ×3, first 2 shown]
	v_mul_f64 v[32:33], v[2:3], s[18:19]
	v_mul_f64 v[22:23], v[22:23], s[10:11]
	v_mul_f64 v[20:21], v[20:21], s[10:11]
	v_add_f64 v[2:3], v[60:61], v[10:11]
	v_mul_f64 v[26:27], v[14:15], s[8:9]
	v_mul_f64 v[36:37], v[36:37], s[18:19]
	v_add_f64 v[0:1], v[58:59], v[40:41]
	v_mul_f64 v[30:31], v[16:17], s[8:9]
	v_add_f64 v[8:9], v[12:13], v[8:9]
	v_add_f64 v[4:5], v[4:5], v[6:7]
	v_fma_f64 v[6:7], v[42:43], s[24:25], v[32:33]
	v_fma_f64 v[32:33], v[34:35], s[2:3], -v[32:33]
	v_fma_f64 v[12:13], v[14:15], s[8:9], v[20:21]
	v_fma_f64 v[14:15], v[16:17], s[8:9], v[22:23]
	v_fma_f64 v[16:17], v[42:43], s[26:27], -v[44:45]
	v_fma_f64 v[10:11], v[10:11], s[16:17], v[2:3]
	v_fma_f64 v[20:21], v[24:25], s[22:23], -v[20:21]
	v_fma_f64 v[24:25], v[24:25], s[20:21], -v[26:27]
	v_fma_f64 v[26:27], v[18:19], s[24:25], v[36:37]
	v_fma_f64 v[18:19], v[18:19], s[26:27], -v[46:47]
	;; [unrolled: 3-line block ×3, first 2 shown]
	v_fma_f64 v[28:29], v[28:29], s[20:21], -v[30:31]
	v_fma_f64 v[30:31], v[8:9], s[28:29], v[6:7]
	v_fma_f64 v[16:17], v[8:9], s[28:29], v[16:17]
	;; [unrolled: 1-line block ×3, first 2 shown]
	v_add_f64 v[12:13], v[12:13], v[10:11]
	v_add_f64 v[20:21], v[20:21], v[10:11]
	v_fma_f64 v[32:33], v[4:5], s[28:29], v[26:27]
	v_fma_f64 v[38:39], v[4:5], s[28:29], v[18:19]
	;; [unrolled: 1-line block ×3, first 2 shown]
	v_add_f64 v[24:25], v[24:25], v[10:11]
	v_add_f64 v[40:41], v[22:23], v[36:37]
	;; [unrolled: 1-line block ×6, first 2 shown]
	v_add_f64 v[22:23], v[20:21], -v[16:17]
	v_add_f64 v[26:27], v[12:13], -v[30:31]
	;; [unrolled: 1-line block ×3, first 2 shown]
	v_add_f64 v[18:19], v[8:9], v[24:25]
	v_add_f64 v[16:17], v[28:29], -v[4:5]
	v_add_f64 v[12:13], v[4:5], v[28:29]
	buffer_load_dword v29, off, s[60:63], 0 offset:32 ; 4-byte Folded Reload
	v_mov_b32_e32 v28, 0x77
	v_add_f64 v[24:25], v[32:33], v[34:35]
	v_add_f64 v[20:21], v[38:39], v[40:41]
	v_add_f64 v[8:9], v[40:41], -v[38:39]
	v_add_f64 v[4:5], v[34:35], -v[32:33]
	s_waitcnt vmcnt(0)
	v_mul_u32_u24_sdwa v28, v29, v28 dst_sel:DWORD dst_unused:UNUSED_PAD src0_sel:WORD_0 src1_sel:DWORD
	buffer_load_dword v29, off, s[60:63], 0 offset:40 ; 4-byte Folded Reload
	s_waitcnt vmcnt(0)
	v_add_lshl_u32 v28, v28, v29, 4
	ds_write_b128 v28, v[0:3]
	ds_write_b128 v28, v[24:27] offset:272
	ds_write_b128 v28, v[20:23] offset:544
	;; [unrolled: 1-line block ×6, first 2 shown]
.LBB0_21:
	s_or_b32 exec_lo, exec_lo, s1
	s_waitcnt lgkmcnt(0)
	s_barrier
	buffer_gl0_inv
	ds_read_b128 v[4:7], v255 offset:1904
	ds_read_b128 v[0:3], v255
	ds_read_b128 v[8:11], v255 offset:3808
	ds_read_b128 v[12:15], v255 offset:5712
	;; [unrolled: 1-line block ×9, first 2 shown]
	s_clause 0x7
	buffer_load_dword v106, off, s[60:63], 0 offset:80
	buffer_load_dword v107, off, s[60:63], 0 offset:84
	;; [unrolled: 1-line block ×8, first 2 shown]
	s_mov_b32 s2, 0xf8bb580b
	s_mov_b32 s8, 0x8764f0ba
	;; [unrolled: 1-line block ×7, first 2 shown]
	s_waitcnt lgkmcnt(10)
	v_mul_f64 v[38:39], v[50:51], v[4:5]
	v_mul_f64 v[36:37], v[50:51], v[6:7]
	s_waitcnt lgkmcnt(8)
	v_mul_f64 v[42:43], v[68:69], v[10:11]
	v_mul_f64 v[44:45], v[68:69], v[8:9]
	;; [unrolled: 3-line block ×3, first 2 shown]
	s_waitcnt lgkmcnt(4)
	v_mul_f64 v[68:69], v[74:75], v[26:27]
	s_waitcnt lgkmcnt(3)
	v_mul_f64 v[62:63], v[90:91], v[30:31]
	v_mul_f64 v[64:65], v[90:91], v[28:29]
	;; [unrolled: 1-line block ×3, first 2 shown]
	s_waitcnt lgkmcnt(0)
	v_mul_f64 v[40:41], v[98:99], v[80:81]
	s_mov_b32 s23, 0xbfc2375f
	s_mov_b32 s10, 0x8eee2c13
	;; [unrolled: 1-line block ×11, first 2 shown]
	v_fma_f64 v[38:39], v[48:49], v[6:7], -v[38:39]
	v_mul_f64 v[6:7], v[98:99], v[82:83]
	s_clause 0x3
	buffer_load_dword v98, off, s[60:63], 0 offset:48
	buffer_load_dword v99, off, s[60:63], 0 offset:52
	;; [unrolled: 1-line block ×4, first 2 shown]
	v_fma_f64 v[36:37], v[48:49], v[4:5], v[36:37]
	v_fma_f64 v[8:9], v[66:67], v[8:9], v[42:43]
	v_fma_f64 v[10:11], v[66:67], v[10:11], -v[44:45]
	v_mul_f64 v[66:67], v[86:87], v[20:21]
	v_fma_f64 v[16:17], v[92:93], v[16:17], v[58:59]
	v_fma_f64 v[18:19], v[92:93], v[18:19], -v[60:61]
	v_fma_f64 v[28:29], v[88:89], v[28:29], v[62:63]
	v_fma_f64 v[4:5], v[96:97], v[82:83], -v[40:41]
	v_mul_f64 v[40:41], v[86:87], v[22:23]
	v_fma_f64 v[24:25], v[72:73], v[24:25], v[68:69]
	v_fma_f64 v[26:27], v[72:73], v[26:27], -v[70:71]
	s_mov_b32 s29, 0xbfe4f49e
	s_mov_b32 s31, 0xbfd207e7
	;; [unrolled: 1-line block ×4, first 2 shown]
	v_fma_f64 v[30:31], v[88:89], v[30:31], -v[64:65]
	s_mov_b32 s27, 0x3fefac9e
	s_mov_b32 s39, 0x3fd207e7
	;; [unrolled: 1-line block ×3, first 2 shown]
	v_add_f64 v[44:45], v[2:3], v[38:39]
	v_fma_f64 v[6:7], v[96:97], v[80:81], v[6:7]
	s_mov_b32 s38, s30
	v_add_f64 v[42:43], v[0:1], v[36:37]
	s_mov_b32 s17, 0x3fed1bb4
	s_mov_b32 s35, 0x3fe82f19
	v_fma_f64 v[22:23], v[84:85], v[22:23], -v[66:67]
	s_mov_b32 s16, s10
	s_mov_b32 s34, s24
	v_add_f64 v[64:65], v[16:17], v[28:29]
	v_fma_f64 v[20:21], v[84:85], v[20:21], v[40:41]
	v_add_f64 v[66:67], v[18:19], v[30:31]
	v_add_f64 v[68:69], v[18:19], -v[30:31]
	v_add_f64 v[40:41], v[42:43], v[8:9]
	v_add_f64 v[42:43], v[44:45], v[10:11]
	;; [unrolled: 1-line block ×3, first 2 shown]
	v_add_f64 v[36:37], v[36:37], -v[6:7]
	s_waitcnt vmcnt(8)
	v_mul_f64 v[48:49], v[108:109], v[76:77]
	s_waitcnt vmcnt(4)
	v_mul_f64 v[50:51], v[104:105], v[14:15]
	v_mul_f64 v[52:53], v[104:105], v[12:13]
	;; [unrolled: 1-line block ×3, first 2 shown]
	v_fma_f64 v[48:49], v[106:107], v[78:79], -v[48:49]
	v_fma_f64 v[12:13], v[102:103], v[12:13], v[50:51]
	v_fma_f64 v[14:15], v[102:103], v[14:15], -v[52:53]
	v_add_f64 v[50:51], v[38:39], -v[4:5]
	v_add_f64 v[38:39], v[38:39], v[4:5]
	v_fma_f64 v[46:47], v[106:107], v[76:77], v[46:47]
	s_waitcnt vmcnt(0)
	v_mul_f64 v[54:55], v[100:101], v[34:35]
	v_mul_f64 v[56:57], v[100:101], v[32:33]
	;; [unrolled: 1-line block ×4, first 2 shown]
	v_add_f64 v[52:53], v[8:9], v[46:47]
	v_add_f64 v[8:9], v[8:9], -v[46:47]
	v_mul_f64 v[74:75], v[50:51], s[10:11]
	v_mul_f64 v[76:77], v[38:39], s[18:19]
	;; [unrolled: 1-line block ×4, first 2 shown]
	v_fma_f64 v[32:33], v[98:99], v[32:33], v[54:55]
	v_fma_f64 v[34:35], v[98:99], v[34:35], -v[56:57]
	v_add_f64 v[54:55], v[10:11], -v[48:49]
	v_add_f64 v[10:11], v[10:11], v[48:49]
	v_fma_f64 v[112:113], v[44:45], s[8:9], v[70:71]
	v_fma_f64 v[114:115], v[36:37], s[0:1], v[72:73]
	v_fma_f64 v[70:71], v[44:45], s[8:9], -v[70:71]
	v_fma_f64 v[72:73], v[36:37], s[2:3], v[72:73]
	v_fma_f64 v[116:117], v[44:45], s[18:19], v[74:75]
	;; [unrolled: 1-line block ×3, first 2 shown]
	v_fma_f64 v[74:75], v[44:45], s[18:19], -v[74:75]
	v_fma_f64 v[76:77], v[36:37], s[10:11], v[76:77]
	v_add_f64 v[56:57], v[12:13], v[32:33]
	v_add_f64 v[58:59], v[14:15], v[34:35]
	v_add_f64 v[60:61], v[12:13], -v[32:33]
	v_add_f64 v[62:63], v[14:15], -v[34:35]
	v_add_f64 v[12:13], v[40:41], v[12:13]
	v_add_f64 v[14:15], v[42:43], v[14:15]
	v_mul_f64 v[40:41], v[50:51], s[20:21]
	v_mul_f64 v[42:43], v[38:39], s[22:23]
	;; [unrolled: 1-line block ×14, first 2 shown]
	v_fma_f64 v[124:125], v[44:45], s[28:29], v[78:79]
	v_fma_f64 v[126:127], v[36:37], s[34:35], v[80:81]
	v_fma_f64 v[78:79], v[44:45], s[28:29], -v[78:79]
	v_mul_f64 v[100:101], v[58:59], s[22:23]
	v_fma_f64 v[80:81], v[36:37], s[24:25], v[80:81]
	v_mul_f64 v[98:99], v[62:63], s[20:21]
	v_add_f64 v[12:13], v[12:13], v[16:17]
	v_add_f64 v[14:15], v[14:15], v[18:19]
	v_fma_f64 v[120:121], v[44:45], s[22:23], v[40:41]
	v_fma_f64 v[122:123], v[36:37], s[26:27], v[42:43]
	v_fma_f64 v[40:41], v[44:45], s[22:23], -v[40:41]
	v_fma_f64 v[42:43], v[36:37], s[20:21], v[42:43]
	v_fma_f64 v[128:129], v[44:45], s[36:37], v[50:51]
	;; [unrolled: 1-line block ×3, first 2 shown]
	v_fma_f64 v[44:45], v[44:45], s[36:37], -v[50:51]
	v_fma_f64 v[36:37], v[36:37], s[30:31], v[38:39]
	v_fma_f64 v[38:39], v[52:53], s[18:19], v[82:83]
	;; [unrolled: 1-line block ×3, first 2 shown]
	v_add_f64 v[112:113], v[0:1], v[112:113]
	v_add_f64 v[114:115], v[2:3], v[114:115]
	v_mul_f64 v[18:19], v[62:63], s[16:17]
	v_mul_f64 v[106:107], v[58:59], s[18:19]
	v_fma_f64 v[136:137], v[52:53], s[36:37], v[90:91]
	v_fma_f64 v[138:139], v[8:9], s[30:31], v[92:93]
	v_fma_f64 v[90:91], v[52:53], s[36:37], -v[90:91]
	v_fma_f64 v[92:93], v[8:9], s[38:39], v[92:93]
	v_mul_f64 v[108:109], v[62:63], s[2:3]
	v_fma_f64 v[82:83], v[52:53], s[18:19], -v[82:83]
	v_add_f64 v[12:13], v[12:13], v[20:21]
	v_add_f64 v[14:15], v[14:15], v[22:23]
	v_fma_f64 v[84:85], v[8:9], s[10:11], v[84:85]
	v_fma_f64 v[132:133], v[52:53], s[28:29], v[86:87]
	v_add_f64 v[40:41], v[0:1], v[40:41]
	v_add_f64 v[42:43], v[2:3], v[42:43]
	v_fma_f64 v[134:135], v[8:9], s[34:35], v[88:89]
	v_fma_f64 v[86:87], v[52:53], s[28:29], -v[86:87]
	v_fma_f64 v[88:89], v[8:9], s[24:25], v[88:89]
	v_fma_f64 v[140:141], v[52:53], s[22:23], v[94:95]
	v_fma_f64 v[142:143], v[8:9], s[20:21], v[96:97]
	v_fma_f64 v[94:95], v[52:53], s[22:23], -v[94:95]
	v_fma_f64 v[96:97], v[8:9], s[26:27], v[96:97]
	v_fma_f64 v[144:145], v[52:53], s[8:9], v[54:55]
	;; [unrolled: 4-line block ×3, first 2 shown]
	v_fma_f64 v[54:55], v[60:61], s[26:27], v[100:101]
	v_add_f64 v[76:77], v[2:3], v[76:77]
	v_add_f64 v[80:81], v[2:3], v[80:81]
	v_mul_f64 v[102:103], v[62:63], s[38:39]
	v_add_f64 v[12:13], v[12:13], v[24:25]
	v_add_f64 v[14:15], v[14:15], v[26:27]
	v_mul_f64 v[104:105], v[58:59], s[36:37]
	v_mul_f64 v[110:111], v[58:59], s[8:9]
	v_add_f64 v[74:75], v[0:1], v[74:75]
	v_add_f64 v[78:79], v[0:1], v[78:79]
	v_mul_f64 v[62:63], v[62:63], s[24:25]
	v_fma_f64 v[152:153], v[56:57], s[18:19], v[18:19]
	v_fma_f64 v[154:155], v[60:61], s[10:11], v[106:107]
	v_fma_f64 v[18:19], v[56:57], s[18:19], -v[18:19]
	v_fma_f64 v[106:107], v[60:61], s[16:17], v[106:107]
	v_add_f64 v[40:41], v[90:91], v[40:41]
	v_add_f64 v[42:43], v[92:93], v[42:43]
	v_mul_f64 v[58:59], v[58:59], s[28:29]
	v_fma_f64 v[98:99], v[56:57], s[22:23], -v[98:99]
	v_add_f64 v[16:17], v[16:17], -v[28:29]
	v_fma_f64 v[100:101], v[60:61], s[20:21], v[100:101]
	v_add_f64 v[80:81], v[96:97], v[80:81]
	v_fma_f64 v[148:149], v[56:57], s[36:37], v[102:103]
	v_add_f64 v[12:13], v[12:13], v[28:29]
	v_add_f64 v[14:15], v[14:15], v[30:31]
	v_add_f64 v[30:31], v[0:1], v[70:71]
	v_add_f64 v[70:71], v[2:3], v[72:73]
	v_add_f64 v[72:73], v[0:1], v[116:117]
	v_add_f64 v[116:117], v[2:3], v[118:119]
	v_add_f64 v[118:119], v[0:1], v[120:121]
	v_add_f64 v[120:121], v[2:3], v[122:123]
	v_add_f64 v[122:123], v[0:1], v[124:125]
	v_add_f64 v[124:125], v[2:3], v[126:127]
	v_add_f64 v[126:127], v[0:1], v[128:129]
	v_add_f64 v[128:129], v[2:3], v[130:131]
	v_add_f64 v[2:3], v[2:3], v[36:37]
	v_add_f64 v[36:37], v[38:39], v[112:113]
	v_add_f64 v[38:39], v[50:51], v[114:115]
	v_add_f64 v[0:1], v[0:1], v[44:45]
	v_mul_f64 v[28:29], v[68:69], s[24:25]
	v_fma_f64 v[150:151], v[60:61], s[30:31], v[104:105]
	v_fma_f64 v[102:103], v[56:57], s[36:37], -v[102:103]
	v_add_f64 v[50:51], v[86:87], v[74:75]
	v_fma_f64 v[104:105], v[60:61], s[38:39], v[104:105]
	v_add_f64 v[78:79], v[94:95], v[78:79]
	v_add_f64 v[12:13], v[12:13], v[32:33]
	v_add_f64 v[14:15], v[14:15], v[34:35]
	v_add_f64 v[30:31], v[82:83], v[30:31]
	v_add_f64 v[32:33], v[84:85], v[70:71]
	v_add_f64 v[70:71], v[88:89], v[76:77]
	v_add_f64 v[34:35], v[132:133], v[72:73]
	v_add_f64 v[44:45], v[134:135], v[116:117]
	v_fma_f64 v[88:89], v[60:61], s[2:3], v[110:111]
	v_add_f64 v[76:77], v[140:141], v[122:123]
	v_add_f64 v[82:83], v[142:143], v[124:125]
	;; [unrolled: 1-line block ×7, first 2 shown]
	v_fma_f64 v[38:39], v[56:57], s[8:9], v[108:109]
	v_mul_f64 v[36:37], v[66:67], s[28:29]
	v_add_f64 v[0:1], v[52:53], v[0:1]
	v_mul_f64 v[52:53], v[66:67], s[22:23]
	v_fma_f64 v[54:55], v[56:57], s[8:9], -v[108:109]
	v_fma_f64 v[42:43], v[56:57], s[28:29], -v[62:63]
	v_add_f64 v[72:73], v[136:137], v[118:119]
	v_add_f64 v[12:13], v[12:13], v[46:47]
	;; [unrolled: 1-line block ×3, first 2 shown]
	v_fma_f64 v[46:47], v[60:61], s[0:1], v[110:111]
	v_mul_f64 v[48:49], v[68:69], s[26:27]
	v_fma_f64 v[90:91], v[56:57], s[28:29], v[62:63]
	v_mul_f64 v[62:63], v[68:69], s[2:3]
	v_add_f64 v[74:75], v[138:139], v[120:121]
	v_add_f64 v[30:31], v[98:99], v[30:31]
	v_fma_f64 v[92:93], v[60:61], s[34:35], v[58:59]
	v_fma_f64 v[56:57], v[60:61], s[24:25], v[58:59]
	;; [unrolled: 1-line block ×3, first 2 shown]
	v_fma_f64 v[28:29], v[64:65], s[28:29], -v[28:29]
	v_add_f64 v[32:33], v[100:101], v[32:33]
	v_add_f64 v[34:35], v[148:149], v[34:35]
	;; [unrolled: 1-line block ×4, first 2 shown]
	v_mul_f64 v[76:77], v[66:67], s[8:9]
	v_fma_f64 v[60:61], v[16:17], s[34:35], v[36:37]
	v_fma_f64 v[36:37], v[16:17], s[24:25], v[36:37]
	v_add_f64 v[50:51], v[102:103], v[50:51]
	v_fma_f64 v[94:95], v[16:17], s[20:21], v[52:53]
	v_add_f64 v[70:71], v[104:105], v[70:71]
	v_add_f64 v[54:55], v[54:55], v[78:79]
	v_fma_f64 v[52:53], v[16:17], s[26:27], v[52:53]
	v_add_f64 v[46:47], v[46:47], v[82:83]
	v_fma_f64 v[82:83], v[64:65], s[22:23], v[48:49]
	v_fma_f64 v[48:49], v[64:65], s[22:23], -v[48:49]
	v_add_f64 v[78:79], v[88:89], v[80:81]
	v_mul_f64 v[80:81], v[68:69], s[30:31]
	v_mul_f64 v[88:89], v[66:67], s[36:37]
	;; [unrolled: 1-line block ×4, first 2 shown]
	v_add_f64 v[0:1], v[42:43], v[0:1]
	v_add_f64 v[42:43], v[22:23], -v[26:27]
	v_add_f64 v[22:23], v[22:23], v[26:27]
	v_add_f64 v[84:85], v[144:145], v[126:127]
	;; [unrolled: 1-line block ×4, first 2 shown]
	v_fma_f64 v[26:27], v[64:65], s[8:9], v[62:63]
	v_add_f64 v[74:75], v[154:155], v[74:75]
	v_add_f64 v[28:29], v[28:29], v[30:31]
	v_fma_f64 v[30:31], v[16:17], s[0:1], v[76:77]
	v_add_f64 v[2:3], v[56:57], v[2:3]
	v_add_f64 v[56:57], v[36:37], v[32:33]
	v_fma_f64 v[36:37], v[64:65], s[8:9], -v[62:63]
	v_add_f64 v[8:9], v[58:59], v[8:9]
	v_add_f64 v[10:11], v[60:61], v[10:11]
	;; [unrolled: 1-line block ×5, first 2 shown]
	v_fma_f64 v[50:51], v[16:17], s[2:3], v[76:77]
	v_add_f64 v[48:49], v[52:53], v[70:71]
	v_fma_f64 v[52:53], v[64:65], s[36:37], v[80:81]
	v_fma_f64 v[58:59], v[16:17], s[38:39], v[88:89]
	v_fma_f64 v[60:61], v[64:65], s[36:37], -v[80:81]
	v_fma_f64 v[62:63], v[16:17], s[30:31], v[88:89]
	v_fma_f64 v[70:71], v[64:65], s[18:19], v[68:69]
	;; [unrolled: 1-line block ×3, first 2 shown]
	v_fma_f64 v[64:65], v[64:65], s[18:19], -v[68:69]
	v_fma_f64 v[16:17], v[16:17], s[16:17], v[66:67]
	v_add_f64 v[66:67], v[20:21], v[24:25]
	v_add_f64 v[20:21], v[20:21], -v[24:25]
	v_mul_f64 v[24:25], v[42:43], s[30:31]
	v_mul_f64 v[68:69], v[22:23], s[36:37]
	v_add_f64 v[84:85], v[90:91], v[84:85]
	v_add_f64 v[86:87], v[92:93], v[86:87]
	;; [unrolled: 1-line block ×3, first 2 shown]
	v_mul_f64 v[72:73], v[42:43], s[0:1]
	v_mul_f64 v[80:81], v[22:23], s[8:9]
	v_add_f64 v[30:31], v[30:31], v[74:75]
	v_mul_f64 v[74:75], v[42:43], s[24:25]
	v_mul_f64 v[82:83], v[22:23], s[28:29]
	v_add_f64 v[18:19], v[36:37], v[18:19]
	;; [unrolled: 3-line block ×4, first 2 shown]
	v_add_f64 v[42:43], v[58:59], v[46:47]
	v_add_f64 v[46:47], v[60:61], v[54:55]
	;; [unrolled: 1-line block ×5, first 2 shown]
	v_fma_f64 v[16:17], v[66:67], s[36:37], v[24:25]
	v_fma_f64 v[64:65], v[20:21], s[38:39], v[68:69]
	v_add_f64 v[54:55], v[70:71], v[84:85]
	v_add_f64 v[58:59], v[76:77], v[86:87]
	v_fma_f64 v[24:25], v[66:67], s[36:37], -v[24:25]
	v_fma_f64 v[70:71], v[66:67], s[8:9], v[72:73]
	v_fma_f64 v[76:77], v[20:21], s[2:3], v[80:81]
	v_fma_f64 v[72:73], v[66:67], s[8:9], -v[72:73]
	v_fma_f64 v[78:79], v[66:67], s[28:29], v[74:75]
	v_fma_f64 v[84:85], v[20:21], s[34:35], v[82:83]
	;; [unrolled: 3-line block ×5, first 2 shown]
	v_fma_f64 v[82:83], v[20:21], s[24:25], v[82:83]
	v_fma_f64 v[80:81], v[20:21], s[0:1], v[80:81]
	;; [unrolled: 1-line block ×3, first 2 shown]
	v_add_f64 v[0:1], v[12:13], v[6:7]
	v_add_f64 v[2:3], v[14:15], v[4:5]
	;; [unrolled: 1-line block ×22, first 2 shown]
	ds_write_b128 v255, v[0:3]
	ds_write_b128 v255, v[4:7] offset:1904
	ds_write_b128 v255, v[12:15] offset:3808
	;; [unrolled: 1-line block ×10, first 2 shown]
	s_waitcnt lgkmcnt(0)
	s_barrier
	buffer_gl0_inv
	s_and_b32 exec_lo, exec_lo, vcc_lo
	s_cbranch_execz .LBB0_23
; %bb.22:
	global_load_dwordx4 v[0:3], v255, s[12:13]
	ds_read_b128 v[4:7], v255
	ds_read_b128 v[8:11], v255 offset:1232
	ds_read_b128 v[12:15], v255 offset:19712
	s_clause 0x2
	buffer_load_dword v18, off, s[60:63], 0 offset:4
	buffer_load_dword v19, off, s[60:63], 0 offset:8
	buffer_load_dword v21, off, s[60:63], 0
	s_mov_b32 s0, 0xd336f476
	s_mov_b32 s1, 0x3f490868
	v_add_co_u32 v22, s2, s12, v255
	v_add_co_ci_u32_e64 v23, null, s13, 0, s2
	s_mul_i32 s2, s5, 0x4d0
	s_mul_hi_u32 s3, s4, 0x4d0
	s_add_i32 s3, s3, s2
	s_waitcnt vmcnt(3) lgkmcnt(2)
	v_mul_f64 v[16:17], v[6:7], v[2:3]
	v_mul_f64 v[2:3], v[4:5], v[2:3]
	s_waitcnt vmcnt(2)
	v_mov_b32_e32 v20, v18
	s_waitcnt vmcnt(1)
	v_mad_u64_u32 v[18:19], null, s6, v20, 0
	v_fma_f64 v[4:5], v[4:5], v[0:1], v[16:17]
	v_fma_f64 v[2:3], v[0:1], v[6:7], -v[2:3]
	s_waitcnt vmcnt(0)
	v_mad_u64_u32 v[6:7], null, s4, v21, 0
	v_mov_b32_e32 v0, v19
	s_mulk_i32 s4, 0x4d0
	v_mov_b32_e32 v1, v7
	v_mad_u64_u32 v[16:17], null, s7, v20, v[0:1]
	v_mov_b32_e32 v19, v16
	v_mad_u64_u32 v[20:21], null, s5, v21, v[1:2]
	v_mul_f64 v[0:1], v[4:5], s[0:1]
	v_mul_f64 v[2:3], v[2:3], s[0:1]
	v_lshlrev_b64 v[4:5], 4, v[18:19]
	v_mov_b32_e32 v7, v20
	v_add_co_u32 v4, vcc_lo, s14, v4
	v_add_co_ci_u32_e32 v5, vcc_lo, s15, v5, vcc_lo
	v_lshlrev_b64 v[6:7], 4, v[6:7]
	v_add_co_u32 v4, vcc_lo, v4, v6
	v_add_co_ci_u32_e32 v5, vcc_lo, v5, v7, vcc_lo
	v_add_co_u32 v16, vcc_lo, v4, s4
	global_store_dwordx4 v[4:5], v[0:3], off
	global_load_dwordx4 v[0:3], v255, s[12:13] offset:1232
	v_add_co_ci_u32_e32 v17, vcc_lo, s3, v5, vcc_lo
	v_add_co_u32 v18, vcc_lo, 0x800, v22
	v_add_co_ci_u32_e32 v19, vcc_lo, 0, v23, vcc_lo
	s_waitcnt vmcnt(0) lgkmcnt(1)
	v_mul_f64 v[6:7], v[10:11], v[2:3]
	v_mul_f64 v[2:3], v[8:9], v[2:3]
	v_fma_f64 v[6:7], v[8:9], v[0:1], v[6:7]
	v_fma_f64 v[2:3], v[0:1], v[10:11], -v[2:3]
	v_mul_f64 v[0:1], v[6:7], s[0:1]
	v_mul_f64 v[2:3], v[2:3], s[0:1]
	global_store_dwordx4 v[16:17], v[0:3], off
	global_load_dwordx4 v[0:3], v[18:19], off offset:416
	ds_read_b128 v[4:7], v255 offset:2464
	ds_read_b128 v[8:11], v255 offset:3696
	s_waitcnt vmcnt(0) lgkmcnt(1)
	v_mul_f64 v[20:21], v[6:7], v[2:3]
	v_mul_f64 v[2:3], v[4:5], v[2:3]
	v_fma_f64 v[4:5], v[4:5], v[0:1], v[20:21]
	v_fma_f64 v[2:3], v[0:1], v[6:7], -v[2:3]
	v_mul_f64 v[0:1], v[4:5], s[0:1]
	v_mul_f64 v[2:3], v[2:3], s[0:1]
	v_add_co_u32 v4, vcc_lo, v16, s4
	v_add_co_ci_u32_e32 v5, vcc_lo, s3, v17, vcc_lo
	v_add_co_u32 v16, vcc_lo, v4, s4
	v_add_co_ci_u32_e32 v17, vcc_lo, s3, v5, vcc_lo
	global_store_dwordx4 v[4:5], v[0:3], off
	global_load_dwordx4 v[0:3], v[18:19], off offset:1648
	v_add_co_u32 v4, vcc_lo, 0x1000, v22
	v_add_co_ci_u32_e32 v5, vcc_lo, 0, v23, vcc_lo
	s_waitcnt vmcnt(0) lgkmcnt(0)
	v_mul_f64 v[6:7], v[10:11], v[2:3]
	v_mul_f64 v[2:3], v[8:9], v[2:3]
	v_fma_f64 v[6:7], v[8:9], v[0:1], v[6:7]
	v_fma_f64 v[2:3], v[0:1], v[10:11], -v[2:3]
	v_mul_f64 v[0:1], v[6:7], s[0:1]
	v_mul_f64 v[2:3], v[2:3], s[0:1]
	global_store_dwordx4 v[16:17], v[0:3], off
	global_load_dwordx4 v[0:3], v[4:5], off offset:832
	ds_read_b128 v[4:7], v255 offset:4928
	ds_read_b128 v[8:11], v255 offset:6160
	s_waitcnt vmcnt(0) lgkmcnt(1)
	v_mul_f64 v[18:19], v[6:7], v[2:3]
	v_mul_f64 v[2:3], v[4:5], v[2:3]
	v_fma_f64 v[4:5], v[4:5], v[0:1], v[18:19]
	v_fma_f64 v[2:3], v[0:1], v[6:7], -v[2:3]
	v_mul_f64 v[0:1], v[4:5], s[0:1]
	v_mul_f64 v[2:3], v[2:3], s[0:1]
	v_add_co_u32 v4, vcc_lo, v16, s4
	v_add_co_ci_u32_e32 v5, vcc_lo, s3, v17, vcc_lo
	v_add_co_u32 v6, vcc_lo, 0x1800, v22
	v_add_co_ci_u32_e32 v7, vcc_lo, 0, v23, vcc_lo
	global_store_dwordx4 v[4:5], v[0:3], off
	global_load_dwordx4 v[0:3], v[6:7], off offset:16
	s_waitcnt vmcnt(0) lgkmcnt(0)
	v_mul_f64 v[16:17], v[10:11], v[2:3]
	v_mul_f64 v[2:3], v[8:9], v[2:3]
	v_fma_f64 v[8:9], v[8:9], v[0:1], v[16:17]
	v_fma_f64 v[2:3], v[0:1], v[10:11], -v[2:3]
	v_add_co_u32 v16, vcc_lo, v4, s4
	v_add_co_ci_u32_e32 v17, vcc_lo, s3, v5, vcc_lo
	v_mul_f64 v[0:1], v[8:9], s[0:1]
	v_mul_f64 v[2:3], v[2:3], s[0:1]
	global_store_dwordx4 v[16:17], v[0:3], off
	global_load_dwordx4 v[0:3], v[6:7], off offset:1248
	ds_read_b128 v[4:7], v255 offset:7392
	ds_read_b128 v[8:11], v255 offset:8624
	s_waitcnt vmcnt(0) lgkmcnt(1)
	v_mul_f64 v[18:19], v[6:7], v[2:3]
	v_mul_f64 v[2:3], v[4:5], v[2:3]
	v_fma_f64 v[4:5], v[4:5], v[0:1], v[18:19]
	v_fma_f64 v[2:3], v[0:1], v[6:7], -v[2:3]
	v_mul_f64 v[0:1], v[4:5], s[0:1]
	v_mul_f64 v[2:3], v[2:3], s[0:1]
	v_add_co_u32 v4, vcc_lo, v16, s4
	v_add_co_ci_u32_e32 v5, vcc_lo, s3, v17, vcc_lo
	v_add_co_u32 v6, vcc_lo, 0x2000, v22
	v_add_co_ci_u32_e32 v7, vcc_lo, 0, v23, vcc_lo
	global_store_dwordx4 v[4:5], v[0:3], off
	global_load_dwordx4 v[0:3], v[6:7], off offset:432
	s_waitcnt vmcnt(0) lgkmcnt(0)
	v_mul_f64 v[16:17], v[10:11], v[2:3]
	v_mul_f64 v[2:3], v[8:9], v[2:3]
	v_fma_f64 v[8:9], v[8:9], v[0:1], v[16:17]
	v_fma_f64 v[2:3], v[0:1], v[10:11], -v[2:3]
	v_add_co_u32 v16, vcc_lo, v4, s4
	v_add_co_ci_u32_e32 v17, vcc_lo, s3, v5, vcc_lo
	v_mul_f64 v[0:1], v[8:9], s[0:1]
	v_mul_f64 v[2:3], v[2:3], s[0:1]
	global_store_dwordx4 v[16:17], v[0:3], off
	global_load_dwordx4 v[0:3], v[6:7], off offset:1664
	ds_read_b128 v[4:7], v255 offset:9856
	ds_read_b128 v[8:11], v255 offset:11088
	s_waitcnt vmcnt(0) lgkmcnt(1)
	v_mul_f64 v[18:19], v[6:7], v[2:3]
	v_mul_f64 v[2:3], v[4:5], v[2:3]
	v_fma_f64 v[4:5], v[4:5], v[0:1], v[18:19]
	v_fma_f64 v[2:3], v[0:1], v[6:7], -v[2:3]
	v_mul_f64 v[0:1], v[4:5], s[0:1]
	v_mul_f64 v[2:3], v[2:3], s[0:1]
	v_add_co_u32 v4, vcc_lo, v16, s4
	v_add_co_ci_u32_e32 v5, vcc_lo, s3, v17, vcc_lo
	v_add_co_u32 v6, vcc_lo, 0x2800, v22
	v_add_co_ci_u32_e32 v7, vcc_lo, 0, v23, vcc_lo
	;; [unrolled: 2-line block ×4, first 2 shown]
	global_store_dwordx4 v[4:5], v[0:3], off
	global_load_dwordx4 v[0:3], v[6:7], off offset:848
	s_waitcnt vmcnt(0) lgkmcnt(0)
	v_mul_f64 v[6:7], v[10:11], v[2:3]
	v_mul_f64 v[2:3], v[8:9], v[2:3]
	v_fma_f64 v[6:7], v[8:9], v[0:1], v[6:7]
	v_fma_f64 v[2:3], v[0:1], v[10:11], -v[2:3]
	v_mul_f64 v[0:1], v[6:7], s[0:1]
	v_mul_f64 v[2:3], v[2:3], s[0:1]
	global_store_dwordx4 v[16:17], v[0:3], off
	global_load_dwordx4 v[0:3], v[18:19], off offset:32
	ds_read_b128 v[4:7], v255 offset:12320
	ds_read_b128 v[8:11], v255 offset:13552
	s_waitcnt vmcnt(0) lgkmcnt(1)
	v_mul_f64 v[20:21], v[6:7], v[2:3]
	v_mul_f64 v[2:3], v[4:5], v[2:3]
	v_fma_f64 v[4:5], v[4:5], v[0:1], v[20:21]
	v_fma_f64 v[2:3], v[0:1], v[6:7], -v[2:3]
	v_mul_f64 v[0:1], v[4:5], s[0:1]
	v_mul_f64 v[2:3], v[2:3], s[0:1]
	v_add_co_u32 v4, vcc_lo, v16, s4
	v_add_co_ci_u32_e32 v5, vcc_lo, s3, v17, vcc_lo
	v_add_co_u32 v16, vcc_lo, v4, s4
	v_add_co_ci_u32_e32 v17, vcc_lo, s3, v5, vcc_lo
	global_store_dwordx4 v[4:5], v[0:3], off
	global_load_dwordx4 v[0:3], v[18:19], off offset:1264
	v_add_co_u32 v18, vcc_lo, 0x3800, v22
	v_add_co_ci_u32_e32 v19, vcc_lo, 0, v23, vcc_lo
	s_waitcnt vmcnt(0) lgkmcnt(0)
	v_mul_f64 v[6:7], v[10:11], v[2:3]
	v_mul_f64 v[2:3], v[8:9], v[2:3]
	v_fma_f64 v[6:7], v[8:9], v[0:1], v[6:7]
	v_fma_f64 v[2:3], v[0:1], v[10:11], -v[2:3]
	v_mul_f64 v[0:1], v[6:7], s[0:1]
	v_mul_f64 v[2:3], v[2:3], s[0:1]
	global_store_dwordx4 v[16:17], v[0:3], off
	global_load_dwordx4 v[0:3], v[18:19], off offset:448
	ds_read_b128 v[4:7], v255 offset:14784
	ds_read_b128 v[8:11], v255 offset:16016
	s_waitcnt vmcnt(0) lgkmcnt(1)
	v_mul_f64 v[20:21], v[6:7], v[2:3]
	v_mul_f64 v[2:3], v[4:5], v[2:3]
	v_fma_f64 v[4:5], v[4:5], v[0:1], v[20:21]
	v_fma_f64 v[2:3], v[0:1], v[6:7], -v[2:3]
	v_mul_f64 v[0:1], v[4:5], s[0:1]
	v_mul_f64 v[2:3], v[2:3], s[0:1]
	v_add_co_u32 v4, vcc_lo, v16, s4
	v_add_co_ci_u32_e32 v5, vcc_lo, s3, v17, vcc_lo
	v_add_co_u32 v16, vcc_lo, v4, s4
	v_add_co_ci_u32_e32 v17, vcc_lo, s3, v5, vcc_lo
	global_store_dwordx4 v[4:5], v[0:3], off
	global_load_dwordx4 v[0:3], v[18:19], off offset:1680
	v_add_co_u32 v4, vcc_lo, 0x4000, v22
	v_add_co_ci_u32_e32 v5, vcc_lo, 0, v23, vcc_lo
	;; [unrolled: 26-line block ×3, first 2 shown]
	s_waitcnt vmcnt(0) lgkmcnt(0)
	v_mul_f64 v[16:17], v[10:11], v[2:3]
	v_mul_f64 v[2:3], v[8:9], v[2:3]
	v_fma_f64 v[8:9], v[8:9], v[0:1], v[16:17]
	v_fma_f64 v[2:3], v[0:1], v[10:11], -v[2:3]
	v_mul_f64 v[0:1], v[8:9], s[0:1]
	v_mul_f64 v[2:3], v[2:3], s[0:1]
	global_store_dwordx4 v[4:5], v[0:3], off
	global_load_dwordx4 v[0:3], v[6:7], off offset:1280
	v_add_co_u32 v4, vcc_lo, v4, s4
	v_add_co_ci_u32_e32 v5, vcc_lo, s3, v5, vcc_lo
	s_waitcnt vmcnt(0)
	v_mul_f64 v[6:7], v[14:15], v[2:3]
	v_mul_f64 v[2:3], v[12:13], v[2:3]
	v_fma_f64 v[6:7], v[12:13], v[0:1], v[6:7]
	v_fma_f64 v[2:3], v[0:1], v[14:15], -v[2:3]
	v_mul_f64 v[0:1], v[6:7], s[0:1]
	v_mul_f64 v[2:3], v[2:3], s[0:1]
	global_store_dwordx4 v[4:5], v[0:3], off
.LBB0_23:
	s_endpgm
	.section	.rodata,"a",@progbits
	.p2align	6, 0x0
	.amdhsa_kernel bluestein_single_back_len1309_dim1_dp_op_CI_CI
		.amdhsa_group_segment_fixed_size 20944
		.amdhsa_private_segment_fixed_size 676
		.amdhsa_kernarg_size 104
		.amdhsa_user_sgpr_count 6
		.amdhsa_user_sgpr_private_segment_buffer 1
		.amdhsa_user_sgpr_dispatch_ptr 0
		.amdhsa_user_sgpr_queue_ptr 0
		.amdhsa_user_sgpr_kernarg_segment_ptr 1
		.amdhsa_user_sgpr_dispatch_id 0
		.amdhsa_user_sgpr_flat_scratch_init 0
		.amdhsa_user_sgpr_private_segment_size 0
		.amdhsa_wavefront_size32 1
		.amdhsa_uses_dynamic_stack 0
		.amdhsa_system_sgpr_private_segment_wavefront_offset 1
		.amdhsa_system_sgpr_workgroup_id_x 1
		.amdhsa_system_sgpr_workgroup_id_y 0
		.amdhsa_system_sgpr_workgroup_id_z 0
		.amdhsa_system_sgpr_workgroup_info 0
		.amdhsa_system_vgpr_workitem_id 0
		.amdhsa_next_free_vgpr 256
		.amdhsa_next_free_sgpr 64
		.amdhsa_reserve_vcc 1
		.amdhsa_reserve_flat_scratch 0
		.amdhsa_float_round_mode_32 0
		.amdhsa_float_round_mode_16_64 0
		.amdhsa_float_denorm_mode_32 3
		.amdhsa_float_denorm_mode_16_64 3
		.amdhsa_dx10_clamp 1
		.amdhsa_ieee_mode 1
		.amdhsa_fp16_overflow 0
		.amdhsa_workgroup_processor_mode 1
		.amdhsa_memory_ordered 1
		.amdhsa_forward_progress 0
		.amdhsa_shared_vgpr_count 0
		.amdhsa_exception_fp_ieee_invalid_op 0
		.amdhsa_exception_fp_denorm_src 0
		.amdhsa_exception_fp_ieee_div_zero 0
		.amdhsa_exception_fp_ieee_overflow 0
		.amdhsa_exception_fp_ieee_underflow 0
		.amdhsa_exception_fp_ieee_inexact 0
		.amdhsa_exception_int_div_zero 0
	.end_amdhsa_kernel
	.text
.Lfunc_end0:
	.size	bluestein_single_back_len1309_dim1_dp_op_CI_CI, .Lfunc_end0-bluestein_single_back_len1309_dim1_dp_op_CI_CI
                                        ; -- End function
	.section	.AMDGPU.csdata,"",@progbits
; Kernel info:
; codeLenInByte = 35452
; NumSgprs: 66
; NumVgprs: 256
; ScratchSize: 676
; MemoryBound: 0
; FloatMode: 240
; IeeeMode: 1
; LDSByteSize: 20944 bytes/workgroup (compile time only)
; SGPRBlocks: 8
; VGPRBlocks: 31
; NumSGPRsForWavesPerEU: 66
; NumVGPRsForWavesPerEU: 256
; Occupancy: 4
; WaveLimiterHint : 1
; COMPUTE_PGM_RSRC2:SCRATCH_EN: 1
; COMPUTE_PGM_RSRC2:USER_SGPR: 6
; COMPUTE_PGM_RSRC2:TRAP_HANDLER: 0
; COMPUTE_PGM_RSRC2:TGID_X_EN: 1
; COMPUTE_PGM_RSRC2:TGID_Y_EN: 0
; COMPUTE_PGM_RSRC2:TGID_Z_EN: 0
; COMPUTE_PGM_RSRC2:TIDIG_COMP_CNT: 0
	.text
	.p2alignl 6, 3214868480
	.fill 48, 4, 3214868480
	.type	__hip_cuid_7c02b636408a3d25,@object ; @__hip_cuid_7c02b636408a3d25
	.section	.bss,"aw",@nobits
	.globl	__hip_cuid_7c02b636408a3d25
__hip_cuid_7c02b636408a3d25:
	.byte	0                               ; 0x0
	.size	__hip_cuid_7c02b636408a3d25, 1

	.ident	"AMD clang version 19.0.0git (https://github.com/RadeonOpenCompute/llvm-project roc-6.4.0 25133 c7fe45cf4b819c5991fe208aaa96edf142730f1d)"
	.section	".note.GNU-stack","",@progbits
	.addrsig
	.addrsig_sym __hip_cuid_7c02b636408a3d25
	.amdgpu_metadata
---
amdhsa.kernels:
  - .args:
      - .actual_access:  read_only
        .address_space:  global
        .offset:         0
        .size:           8
        .value_kind:     global_buffer
      - .actual_access:  read_only
        .address_space:  global
        .offset:         8
        .size:           8
        .value_kind:     global_buffer
      - .actual_access:  read_only
        .address_space:  global
        .offset:         16
        .size:           8
        .value_kind:     global_buffer
      - .actual_access:  read_only
        .address_space:  global
        .offset:         24
        .size:           8
        .value_kind:     global_buffer
      - .actual_access:  read_only
        .address_space:  global
        .offset:         32
        .size:           8
        .value_kind:     global_buffer
      - .offset:         40
        .size:           8
        .value_kind:     by_value
      - .address_space:  global
        .offset:         48
        .size:           8
        .value_kind:     global_buffer
      - .address_space:  global
        .offset:         56
        .size:           8
        .value_kind:     global_buffer
      - .address_space:  global
        .offset:         64
        .size:           8
        .value_kind:     global_buffer
      - .address_space:  global
        .offset:         72
        .size:           8
        .value_kind:     global_buffer
      - .offset:         80
        .size:           4
        .value_kind:     by_value
      - .address_space:  global
        .offset:         88
        .size:           8
        .value_kind:     global_buffer
      - .address_space:  global
        .offset:         96
        .size:           8
        .value_kind:     global_buffer
    .group_segment_fixed_size: 20944
    .kernarg_segment_align: 8
    .kernarg_segment_size: 104
    .language:       OpenCL C
    .language_version:
      - 2
      - 0
    .max_flat_workgroup_size: 119
    .name:           bluestein_single_back_len1309_dim1_dp_op_CI_CI
    .private_segment_fixed_size: 676
    .sgpr_count:     66
    .sgpr_spill_count: 0
    .symbol:         bluestein_single_back_len1309_dim1_dp_op_CI_CI.kd
    .uniform_work_group_size: 1
    .uses_dynamic_stack: false
    .vgpr_count:     256
    .vgpr_spill_count: 286
    .wavefront_size: 32
    .workgroup_processor_mode: 1
amdhsa.target:   amdgcn-amd-amdhsa--gfx1030
amdhsa.version:
  - 1
  - 2
...

	.end_amdgpu_metadata
